;; amdgpu-corpus repo=ROCm/rocFFT kind=compiled arch=gfx1201 opt=O3
	.text
	.amdgcn_target "amdgcn-amd-amdhsa--gfx1201"
	.amdhsa_code_object_version 6
	.protected	fft_rtc_back_len169_factors_13_13_wgs_156_tpt_13_dp_op_CI_CI_sbcc_twdbase5_3step ; -- Begin function fft_rtc_back_len169_factors_13_13_wgs_156_tpt_13_dp_op_CI_CI_sbcc_twdbase5_3step
	.globl	fft_rtc_back_len169_factors_13_13_wgs_156_tpt_13_dp_op_CI_CI_sbcc_twdbase5_3step
	.p2align	8
	.type	fft_rtc_back_len169_factors_13_13_wgs_156_tpt_13_dp_op_CI_CI_sbcc_twdbase5_3step,@function
fft_rtc_back_len169_factors_13_13_wgs_156_tpt_13_dp_op_CI_CI_sbcc_twdbase5_3step: ; @fft_rtc_back_len169_factors_13_13_wgs_156_tpt_13_dp_op_CI_CI_sbcc_twdbase5_3step
; %bb.0:
	s_clause 0x1
	s_load_b256 s[4:11], s[0:1], 0x8
	s_load_b64 s[26:27], s[0:1], 0x28
	s_mov_b32 s2, ttmp9
	s_mov_b32 s3, exec_lo
	v_cmpx_gt_u32_e32 0x60, v0
	s_cbranch_execz .LBB0_2
; %bb.1:
	v_lshlrev_b32_e32 v5, 4, v0
	s_wait_kmcnt 0x0
	global_load_b128 v[1:4], v5, s[4:5]
	v_add3_u32 v5, 0, v5, 0x7ec0
	s_wait_loadcnt 0x0
	ds_store_2addr_b64 v5, v[1:2], v[3:4] offset1:1
.LBB0_2:
	s_or_b32 exec_lo, exec_lo, s3
	s_mov_b32 s3, 0
	s_wait_kmcnt 0x0
	s_mov_b32 s4, 0x55540000
	s_movk_i32 s5, 0x55
	s_mov_b32 s12, s3
	s_mov_b32 s13, s3
	s_load_b64 s[28:29], s[8:9], 0x8
	s_add_nc_u64 s[4:5], s[12:13], s[4:5]
	s_mov_b32 s17, s3
	s_add_co_i32 s5, s5, 0x15555500
	s_mov_b64 s[20:21], 0
	s_mul_u64 s[12:13], s[4:5], -12
	s_delay_alu instid0(SALU_CYCLE_1)
	s_mul_hi_u32 s15, s4, s13
	s_mul_i32 s14, s4, s13
	s_mul_hi_u32 s16, s4, s12
	s_mul_hi_u32 s18, s5, s12
	s_mul_i32 s12, s5, s12
	s_add_nc_u64 s[14:15], s[16:17], s[14:15]
	s_mul_hi_u32 s16, s5, s13
	s_add_co_u32 s12, s14, s12
	s_add_co_ci_u32 s12, s15, s18
	s_add_co_ci_u32 s15, s16, 0
	s_mul_i32 s14, s5, s13
	s_mov_b32 s13, s3
	s_delay_alu instid0(SALU_CYCLE_1) | instskip(SKIP_3) | instid1(VALU_DEP_1)
	s_add_nc_u64 s[12:13], s[12:13], s[14:15]
	s_wait_kmcnt 0x0
	s_add_nc_u64 s[14:15], s[28:29], -1
	v_add_co_u32 v1, s4, s4, s12
	s_cmp_lg_u32 s4, 0
	s_add_co_ci_u32 s17, s5, s13
	s_delay_alu instid0(VALU_DEP_1) | instskip(SKIP_3) | instid1(VALU_DEP_1)
	v_readfirstlane_b32 s16, v1
	s_mul_hi_u32 s5, s14, s17
	s_mul_i32 s4, s14, s17
	s_mov_b32 s13, s3
	s_mul_hi_u32 s12, s14, s16
	s_wait_alu 0xfffe
	s_add_nc_u64 s[4:5], s[12:13], s[4:5]
	s_mul_i32 s13, s15, s16
	s_mul_hi_u32 s16, s15, s16
	s_mul_hi_u32 s12, s15, s17
	s_wait_alu 0xfffe
	s_add_co_u32 s4, s4, s13
	s_add_co_ci_u32 s4, s5, s16
	s_add_co_ci_u32 s13, s12, 0
	s_mul_i32 s12, s15, s17
	s_mov_b32 s5, s3
	s_wait_alu 0xfffe
	s_add_nc_u64 s[4:5], s[4:5], s[12:13]
	s_wait_alu 0xfffe
	s_mul_u64 s[12:13], s[4:5], 12
	s_wait_alu 0xfffe
	v_sub_co_u32 v1, s12, s14, s12
	s_delay_alu instid0(VALU_DEP_1) | instskip(SKIP_1) | instid1(VALU_DEP_1)
	s_cmp_lg_u32 s12, 0
	s_sub_co_ci_u32 s16, s15, s13
	v_sub_co_u32 v2, s14, v1, 12
	s_delay_alu instid0(VALU_DEP_1) | instskip(SKIP_2) | instid1(VALU_DEP_2)
	s_cmp_lg_u32 s14, 0
	v_readfirstlane_b32 s18, v1
	s_sub_co_ci_u32 s14, s16, 0
	v_readfirstlane_b32 s12, v2
	s_delay_alu instid0(VALU_DEP_1)
	s_cmp_gt_u32 s12, 11
	s_add_nc_u64 s[12:13], s[4:5], 1
	s_cselect_b32 s17, -1, 0
	s_wait_alu 0xfffe
	s_cmp_eq_u32 s14, 0
	s_add_nc_u64 s[14:15], s[4:5], 2
	s_cselect_b32 s17, s17, -1
	s_delay_alu instid0(SALU_CYCLE_1)
	s_cmp_lg_u32 s17, 0
	s_wait_alu 0xfffe
	s_cselect_b32 s12, s14, s12
	s_cselect_b32 s13, s15, s13
	s_cmp_gt_u32 s18, 11
	s_cselect_b32 s14, -1, 0
	s_cmp_eq_u32 s16, 0
	s_wait_alu 0xfffe
	s_cselect_b32 s14, s14, -1
	s_wait_alu 0xfffe
	s_cmp_lg_u32 s14, 0
	s_cselect_b32 s5, s13, s5
	s_cselect_b32 s4, s12, s4
	s_wait_alu 0xfffe
	s_add_nc_u64 s[34:35], s[4:5], 1
	s_delay_alu instid0(SALU_CYCLE_1) | instskip(NEXT) | instid1(VALU_DEP_1)
	v_cmp_lt_u64_e64 s4, s[2:3], s[34:35]
	s_and_b32 vcc_lo, exec_lo, s4
	s_cbranch_vccnz .LBB0_4
; %bb.3:
	v_cvt_f32_u32_e32 v1, s34
	s_sub_co_i32 s5, 0, s34
	s_mov_b32 s21, s3
	s_delay_alu instid0(VALU_DEP_1) | instskip(NEXT) | instid1(TRANS32_DEP_1)
	v_rcp_iflag_f32_e32 v1, v1
	v_mul_f32_e32 v1, 0x4f7ffffe, v1
	s_delay_alu instid0(VALU_DEP_1) | instskip(NEXT) | instid1(VALU_DEP_1)
	v_cvt_u32_f32_e32 v1, v1
	v_readfirstlane_b32 s4, v1
	s_wait_alu 0xfffe
	s_delay_alu instid0(VALU_DEP_1)
	s_mul_i32 s5, s5, s4
	s_wait_alu 0xfffe
	s_mul_hi_u32 s5, s4, s5
	s_wait_alu 0xfffe
	s_add_co_i32 s4, s4, s5
	s_wait_alu 0xfffe
	s_mul_hi_u32 s4, s2, s4
	s_wait_alu 0xfffe
	s_mul_i32 s5, s4, s34
	s_add_co_i32 s12, s4, 1
	s_wait_alu 0xfffe
	s_sub_co_i32 s5, s2, s5
	s_wait_alu 0xfffe
	s_sub_co_i32 s13, s5, s34
	s_cmp_ge_u32 s5, s34
	s_cselect_b32 s4, s12, s4
	s_wait_alu 0xfffe
	s_cselect_b32 s5, s13, s5
	s_add_co_i32 s12, s4, 1
	s_wait_alu 0xfffe
	s_cmp_ge_u32 s5, s34
	s_cselect_b32 s20, s12, s4
.LBB0_4:
	s_load_b128 s[16:19], s[10:11], 0x0
	s_load_b128 s[12:15], s[26:27], 0x0
	s_load_b64 s[22:23], s[0:1], 0x0
	v_cmp_lt_u64_e64 s30, s[6:7], 3
	s_mul_u64 s[4:5], s[20:21], s[34:35]
	s_wait_alu 0xfffe
	s_sub_nc_u64 s[4:5], s[2:3], s[4:5]
	s_wait_alu 0xfffe
	s_mul_u64 s[24:25], s[4:5], 12
	s_and_b32 vcc_lo, exec_lo, s30
	s_wait_kmcnt 0x0
	s_mul_u64 s[30:31], s[18:19], s[24:25]
	s_mul_u64 s[4:5], s[14:15], s[24:25]
	s_cbranch_vccnz .LBB0_14
; %bb.5:
	s_add_nc_u64 s[36:37], s[26:27], 16
	s_add_nc_u64 s[38:39], s[10:11], 16
	s_add_nc_u64 s[8:9], s[8:9], 16
	s_mov_b64 s[40:41], 2
	s_mov_b32 s42, 0
.LBB0_6:                                ; =>This Inner Loop Header: Depth=1
	s_load_b64 s[44:45], s[8:9], 0x0
                                        ; implicit-def: $sgpr48_sgpr49
	s_wait_kmcnt 0x0
	s_or_b64 s[46:47], s[20:21], s[44:45]
	s_delay_alu instid0(SALU_CYCLE_1)
	s_mov_b32 s43, s47
	s_mov_b32 s47, -1
	s_cmp_lg_u64 s[42:43], 0
	s_cbranch_scc0 .LBB0_8
; %bb.7:                                ;   in Loop: Header=BB0_6 Depth=1
	s_cvt_f32_u32 s33, s44
	s_cvt_f32_u32 s43, s45
	s_sub_nc_u64 s[50:51], 0, s[44:45]
	s_mov_b32 s47, 0
	s_mov_b32 s55, s42
	s_wait_alu 0xfffe
	s_fmamk_f32 s33, s43, 0x4f800000, s33
	s_wait_alu 0xfffe
	s_delay_alu instid0(SALU_CYCLE_2) | instskip(NEXT) | instid1(TRANS32_DEP_1)
	v_s_rcp_f32 s33, s33
	s_mul_f32 s33, s33, 0x5f7ffffc
	s_wait_alu 0xfffe
	s_delay_alu instid0(SALU_CYCLE_2) | instskip(NEXT) | instid1(SALU_CYCLE_3)
	s_mul_f32 s43, s33, 0x2f800000
	s_trunc_f32 s43, s43
	s_delay_alu instid0(SALU_CYCLE_3) | instskip(SKIP_2) | instid1(SALU_CYCLE_1)
	s_fmamk_f32 s33, s43, 0xcf800000, s33
	s_cvt_u32_f32 s49, s43
	s_wait_alu 0xfffe
	s_cvt_u32_f32 s48, s33
	s_wait_alu 0xfffe
	s_delay_alu instid0(SALU_CYCLE_2)
	s_mul_u64 s[52:53], s[50:51], s[48:49]
	s_wait_alu 0xfffe
	s_mul_hi_u32 s57, s48, s53
	s_mul_i32 s56, s48, s53
	s_mul_hi_u32 s46, s48, s52
	s_mul_i32 s43, s49, s52
	s_add_nc_u64 s[56:57], s[46:47], s[56:57]
	s_mul_hi_u32 s33, s49, s52
	s_mul_hi_u32 s58, s49, s53
	s_add_co_u32 s43, s56, s43
	s_wait_alu 0xfffe
	s_add_co_ci_u32 s54, s57, s33
	s_mul_i32 s52, s49, s53
	s_add_co_ci_u32 s53, s58, 0
	s_wait_alu 0xfffe
	s_add_nc_u64 s[52:53], s[54:55], s[52:53]
	s_wait_alu 0xfffe
	v_add_co_u32 v1, s33, s48, s52
	s_delay_alu instid0(VALU_DEP_1) | instskip(SKIP_1) | instid1(VALU_DEP_1)
	s_cmp_lg_u32 s33, 0
	s_add_co_ci_u32 s49, s49, s53
	v_readfirstlane_b32 s48, v1
	s_mov_b32 s53, s42
	s_wait_alu 0xfffe
	s_delay_alu instid0(VALU_DEP_1)
	s_mul_u64 s[50:51], s[50:51], s[48:49]
	s_wait_alu 0xfffe
	s_mul_hi_u32 s55, s48, s51
	s_mul_i32 s54, s48, s51
	s_mul_hi_u32 s46, s48, s50
	s_mul_i32 s43, s49, s50
	s_add_nc_u64 s[54:55], s[46:47], s[54:55]
	s_mul_hi_u32 s33, s49, s50
	s_mul_hi_u32 s48, s49, s51
	s_add_co_u32 s43, s54, s43
	s_wait_alu 0xfffe
	s_add_co_ci_u32 s52, s55, s33
	s_mul_i32 s50, s49, s51
	s_add_co_ci_u32 s51, s48, 0
	s_wait_alu 0xfffe
	s_add_nc_u64 s[50:51], s[52:53], s[50:51]
	s_wait_alu 0xfffe
	v_add_co_u32 v1, s33, v1, s50
	s_delay_alu instid0(VALU_DEP_1) | instskip(SKIP_1) | instid1(VALU_DEP_1)
	s_cmp_lg_u32 s33, 0
	s_add_co_ci_u32 s33, s49, s51
	v_readfirstlane_b32 s43, v1
	s_wait_alu 0xfffe
	s_mul_hi_u32 s49, s20, s33
	s_mul_i32 s48, s20, s33
	s_mul_hi_u32 s51, s21, s33
	s_mul_i32 s50, s21, s33
	;; [unrolled: 2-line block ×3, first 2 shown]
	s_wait_alu 0xfffe
	s_add_nc_u64 s[48:49], s[46:47], s[48:49]
	s_mul_hi_u32 s43, s21, s43
	s_wait_alu 0xfffe
	s_add_co_u32 s33, s48, s33
	s_add_co_ci_u32 s52, s49, s43
	s_add_co_ci_u32 s51, s51, 0
	s_wait_alu 0xfffe
	s_add_nc_u64 s[48:49], s[52:53], s[50:51]
	s_wait_alu 0xfffe
	s_mul_u64 s[50:51], s[44:45], s[48:49]
	s_add_nc_u64 s[52:53], s[48:49], 1
	s_wait_alu 0xfffe
	v_sub_co_u32 v1, s33, s20, s50
	s_sub_co_i32 s43, s21, s51
	s_cmp_lg_u32 s33, 0
	s_add_nc_u64 s[54:55], s[48:49], 2
	s_delay_alu instid0(VALU_DEP_1) | instskip(SKIP_2) | instid1(VALU_DEP_1)
	v_sub_co_u32 v2, s46, v1, s44
	s_sub_co_ci_u32 s43, s43, s45
	s_cmp_lg_u32 s46, 0
	v_readfirstlane_b32 s46, v2
	s_sub_co_ci_u32 s43, s43, 0
	s_delay_alu instid0(SALU_CYCLE_1) | instskip(SKIP_1) | instid1(VALU_DEP_1)
	s_cmp_ge_u32 s43, s45
	s_cselect_b32 s50, -1, 0
	s_cmp_ge_u32 s46, s44
	s_cselect_b32 s46, -1, 0
	s_cmp_eq_u32 s43, s45
	s_wait_alu 0xfffe
	s_cselect_b32 s43, s46, s50
	s_delay_alu instid0(SALU_CYCLE_1)
	s_cmp_lg_u32 s43, 0
	s_cselect_b32 s43, s54, s52
	s_cselect_b32 s46, s55, s53
	s_cmp_lg_u32 s33, 0
	v_readfirstlane_b32 s33, v1
	s_sub_co_ci_u32 s50, s21, s51
	s_wait_alu 0xfffe
	s_cmp_ge_u32 s50, s45
	s_cselect_b32 s51, -1, 0
	s_cmp_ge_u32 s33, s44
	s_cselect_b32 s33, -1, 0
	s_cmp_eq_u32 s50, s45
	s_wait_alu 0xfffe
	s_cselect_b32 s33, s33, s51
	s_wait_alu 0xfffe
	s_cmp_lg_u32 s33, 0
	s_cselect_b32 s49, s46, s49
	s_cselect_b32 s48, s43, s48
.LBB0_8:                                ;   in Loop: Header=BB0_6 Depth=1
	s_and_not1_b32 vcc_lo, exec_lo, s47
	s_cbranch_vccnz .LBB0_10
; %bb.9:                                ;   in Loop: Header=BB0_6 Depth=1
	v_cvt_f32_u32_e32 v1, s44
	s_sub_co_i32 s43, 0, s44
	s_mov_b32 s49, s42
	s_delay_alu instid0(VALU_DEP_1) | instskip(NEXT) | instid1(TRANS32_DEP_1)
	v_rcp_iflag_f32_e32 v1, v1
	v_mul_f32_e32 v1, 0x4f7ffffe, v1
	s_delay_alu instid0(VALU_DEP_1) | instskip(NEXT) | instid1(VALU_DEP_1)
	v_cvt_u32_f32_e32 v1, v1
	v_readfirstlane_b32 s33, v1
	s_delay_alu instid0(VALU_DEP_1) | instskip(NEXT) | instid1(SALU_CYCLE_1)
	s_mul_i32 s43, s43, s33
	s_mul_hi_u32 s43, s33, s43
	s_delay_alu instid0(SALU_CYCLE_1)
	s_add_co_i32 s33, s33, s43
	s_wait_alu 0xfffe
	s_mul_hi_u32 s33, s20, s33
	s_wait_alu 0xfffe
	s_mul_i32 s43, s33, s44
	s_add_co_i32 s46, s33, 1
	s_sub_co_i32 s43, s20, s43
	s_delay_alu instid0(SALU_CYCLE_1)
	s_sub_co_i32 s47, s43, s44
	s_cmp_ge_u32 s43, s44
	s_cselect_b32 s33, s46, s33
	s_cselect_b32 s43, s47, s43
	s_wait_alu 0xfffe
	s_add_co_i32 s46, s33, 1
	s_cmp_ge_u32 s43, s44
	s_cselect_b32 s48, s46, s33
.LBB0_10:                               ;   in Loop: Header=BB0_6 Depth=1
	s_load_b64 s[46:47], s[38:39], 0x0
	s_load_b64 s[50:51], s[36:37], 0x0
	s_add_nc_u64 s[40:41], s[40:41], 1
	s_mul_u64 s[34:35], s[44:45], s[34:35]
	s_wait_alu 0xfffe
	v_cmp_ge_u64_e64 s33, s[40:41], s[6:7]
	s_mul_u64 s[44:45], s[48:49], s[44:45]
	s_add_nc_u64 s[36:37], s[36:37], 8
	s_wait_alu 0xfffe
	s_sub_nc_u64 s[20:21], s[20:21], s[44:45]
	s_add_nc_u64 s[38:39], s[38:39], 8
	s_add_nc_u64 s[8:9], s[8:9], 8
	s_and_b32 vcc_lo, exec_lo, s33
	s_wait_kmcnt 0x0
	s_wait_alu 0xfffe
	s_mul_u64 s[44:45], s[46:47], s[20:21]
	s_mul_u64 s[20:21], s[50:51], s[20:21]
	s_wait_alu 0xfffe
	s_add_nc_u64 s[30:31], s[44:45], s[30:31]
	s_add_nc_u64 s[4:5], s[20:21], s[4:5]
	s_cbranch_vccnz .LBB0_12
; %bb.11:                               ;   in Loop: Header=BB0_6 Depth=1
	s_mov_b64 s[20:21], s[48:49]
	s_branch .LBB0_6
.LBB0_12:
	v_cmp_lt_u64_e64 s3, s[2:3], s[34:35]
	s_mov_b64 s[20:21], 0
	s_delay_alu instid0(VALU_DEP_1)
	s_and_b32 vcc_lo, exec_lo, s3
	s_cbranch_vccnz .LBB0_14
; %bb.13:
	v_cvt_f32_u32_e32 v1, s34
	s_sub_co_i32 s8, 0, s34
	s_mov_b32 s21, 0
	s_delay_alu instid0(VALU_DEP_1) | instskip(NEXT) | instid1(TRANS32_DEP_1)
	v_rcp_iflag_f32_e32 v1, v1
	v_mul_f32_e32 v1, 0x4f7ffffe, v1
	s_delay_alu instid0(VALU_DEP_1) | instskip(NEXT) | instid1(VALU_DEP_1)
	v_cvt_u32_f32_e32 v1, v1
	v_readfirstlane_b32 s3, v1
	s_delay_alu instid0(VALU_DEP_1) | instskip(NEXT) | instid1(SALU_CYCLE_1)
	s_mul_i32 s8, s8, s3
	s_mul_hi_u32 s8, s3, s8
	s_delay_alu instid0(SALU_CYCLE_1) | instskip(SKIP_4) | instid1(SALU_CYCLE_1)
	s_add_co_i32 s3, s3, s8
	s_wait_alu 0xfffe
	s_mul_hi_u32 s3, s2, s3
	s_wait_alu 0xfffe
	s_mul_i32 s8, s3, s34
	s_sub_co_i32 s2, s2, s8
	s_add_co_i32 s8, s3, 1
	s_wait_alu 0xfffe
	s_sub_co_i32 s9, s2, s34
	s_cmp_ge_u32 s2, s34
	s_cselect_b32 s3, s8, s3
	s_cselect_b32 s2, s9, s2
	s_wait_alu 0xfffe
	s_add_co_i32 s8, s3, 1
	s_cmp_ge_u32 s2, s34
	s_cselect_b32 s20, s8, s3
.LBB0_14:
	v_mul_hi_u32 v255, 0x15555556, v0
	v_mov_b32_e32 v20, 0
	s_lshl_b64 s[8:9], s[6:7], 3
	s_add_nc_u64 s[6:7], s[24:25], 12
	s_load_b128 s[0:3], s[0:1], 0x60
	v_cmp_le_u64_e64 s33, s[6:7], s[28:29]
	s_delay_alu instid0(VALU_DEP_3) | instskip(SKIP_1) | instid1(VALU_DEP_2)
	v_mul_u32_u24_e32 v1, 12, v255
	v_add_nc_u32_e32 v3, 0x4e, v255
	v_sub_nc_u32_e32 v4, v0, v1
	v_add_nc_u32_e32 v1, 39, v255
	scratch_store_b32 off, v3, off offset:136 ; 4-byte Folded Spill
	v_add_nc_u32_e32 v3, 0x5b, v255
	scratch_store_b32 off, v1, off offset:148 ; 4-byte Folded Spill
	;; [unrolled: 2-line block ×5, first 2 shown]
	v_add_co_u32 v1, s6, s24, v4
	s_wait_alu 0xf1ff
	v_add_co_ci_u32_e64 v2, null, s25, 0, s6
	s_clause 0x1
	scratch_store_b32 off, v3, off offset:128
	scratch_store_b32 off, v4, off
	v_mul_lo_u32 v3, 0xa90, v4
	s_add_nc_u64 s[6:7], s[26:27], s[8:9]
	v_cmp_gt_u64_e32 vcc_lo, s[28:29], v[1:2]
	v_add_nc_u32_e32 v1, 0x75, v255
	scratch_store_b32 off, v1, off offset:124 ; 4-byte Folded Spill
	v_add_nc_u32_e32 v1, 0x82, v255
	s_or_b32 s33, s33, vcc_lo
	scratch_store_b32 off, v1, off offset:120 ; 4-byte Folded Spill
	v_add_nc_u32_e32 v1, 0x8f, v255
	scratch_store_b32 off, v1, off offset:116 ; 4-byte Folded Spill
	v_add_nc_u32_e32 v1, 0x9c, v255
	s_clause 0x1
	scratch_store_b32 off, v3, off offset:4
	scratch_store_b32 off, v1, off offset:112
	s_wait_alu 0xfffe
	s_and_saveexec_b32 s26, s33
	s_cbranch_execz .LBB0_16
; %bb.15:
	scratch_load_b32 v7, off, off           ; 4-byte Folded Reload
	v_mad_co_u64_u32 v[3:4], null, s16, v255, 0
	s_add_nc_u64 s[8:9], s[10:11], s[8:9]
	s_lshl_b64 s[10:11], s[30:31], 4
	s_load_b64 s[8:9], s[8:9], 0x0
	v_add_nc_u32_e32 v19, 0x41, v255
	v_add_nc_u32_e32 v24, 0x4e, v255
	;; [unrolled: 1-line block ×3, first 2 shown]
	s_delay_alu instid0(VALU_DEP_3) | instskip(NEXT) | instid1(VALU_DEP_3)
	v_mad_co_u64_u32 v[21:22], null, s16, v19, 0
	v_mad_co_u64_u32 v[29:30], null, s16, v24, 0
	v_add_nc_u32_e32 v26, 0x5b, v255
	s_delay_alu instid0(VALU_DEP_4) | instskip(SKIP_2) | instid1(SALU_CYCLE_1)
	v_mad_co_u64_u32 v[43:44], null, s16, v50, 0
	s_wait_kmcnt 0x0
	s_mul_u64 s[8:9], s[8:9], s[20:21]
	s_lshl_b64 s[8:9], s[8:9], 4
	s_delay_alu instid0(SALU_CYCLE_1) | instskip(NEXT) | instid1(SALU_CYCLE_1)
	s_add_nc_u64 s[0:1], s[0:1], s[8:9]
	s_add_nc_u64 s[0:1], s[0:1], s[10:11]
	s_wait_loadcnt 0x0
	v_mad_co_u64_u32 v[1:2], null, s18, v7, 0
	s_delay_alu instid0(VALU_DEP_1) | instskip(NEXT) | instid1(VALU_DEP_1)
	v_mad_co_u64_u32 v[7:8], null, s19, v7, v[2:3]
	v_dual_mov_b32 v2, v7 :: v_dual_add_nc_u32 v13, 26, v255
	s_delay_alu instid0(VALU_DEP_1) | instskip(SKIP_1) | instid1(VALU_DEP_3)
	v_mad_co_u64_u32 v[8:9], null, s16, v13, 0
	v_add_nc_u32_e32 v14, 13, v255
	v_lshlrev_b64_e32 v[1:2], 4, v[1:2]
	s_delay_alu instid0(VALU_DEP_3) | instskip(NEXT) | instid1(VALU_DEP_3)
	v_mov_b32_e32 v7, v9
	v_mad_co_u64_u32 v[5:6], null, s16, v14, 0
	s_delay_alu instid0(VALU_DEP_3) | instskip(NEXT) | instid1(VALU_DEP_4)
	v_add_co_u32 v53, vcc_lo, s0, v1
	v_add_co_ci_u32_e32 v54, vcc_lo, s1, v2, vcc_lo
	s_delay_alu instid0(VALU_DEP_3) | instskip(NEXT) | instid1(VALU_DEP_1)
	v_mad_co_u64_u32 v[10:11], null, s17, v255, v[4:5]
	v_dual_mov_b32 v4, v10 :: v_dual_add_nc_u32 v15, 39, v255
	s_delay_alu instid0(VALU_DEP_1) | instskip(SKIP_2) | instid1(VALU_DEP_4)
	v_mad_co_u64_u32 v[11:12], null, s16, v15, 0
	v_mad_co_u64_u32 v[9:10], null, s17, v14, v[6:7]
	;; [unrolled: 1-line block ×3, first 2 shown]
	v_lshlrev_b64_e32 v[1:2], 4, v[3:4]
	s_delay_alu instid0(VALU_DEP_3) | instskip(NEXT) | instid1(VALU_DEP_2)
	v_dual_mov_b32 v7, v12 :: v_dual_mov_b32 v6, v9
	v_add_co_u32 v1, vcc_lo, v53, v1
	s_delay_alu instid0(VALU_DEP_2) | instskip(SKIP_1) | instid1(VALU_DEP_4)
	v_mad_co_u64_u32 v[3:4], null, s17, v15, v[7:8]
	v_mov_b32_e32 v9, v13
	v_lshlrev_b64_e32 v[4:5], 4, v[5:6]
	v_add_nc_u32_e32 v15, 52, v255
	s_wait_alu 0xfffd
	v_add_co_ci_u32_e32 v2, vcc_lo, v54, v2, vcc_lo
	v_mov_b32_e32 v12, v3
	v_lshlrev_b64_e32 v[6:7], 4, v[8:9]
	v_add_co_u32 v8, vcc_lo, v53, v4
	s_wait_alu 0xfffd
	v_add_co_ci_u32_e32 v9, vcc_lo, v54, v5, vcc_lo
	v_lshlrev_b64_e32 v[3:4], 4, v[11:12]
	s_delay_alu instid0(VALU_DEP_4)
	v_add_co_u32 v10, vcc_lo, v53, v6
	v_mov_b32_e32 v6, v22
	v_mad_co_u64_u32 v[17:18], null, s16, v15, 0
	s_wait_alu 0xfffd
	v_add_co_ci_u32_e32 v11, vcc_lo, v54, v7, vcc_lo
	v_add_co_u32 v13, vcc_lo, v53, v3
	s_wait_alu 0xfffd
	v_add_co_ci_u32_e32 v14, vcc_lo, v54, v4, vcc_lo
	s_delay_alu instid0(VALU_DEP_4) | instskip(NEXT) | instid1(VALU_DEP_1)
	v_mov_b32_e32 v5, v18
	v_mad_co_u64_u32 v[15:16], null, s17, v15, v[5:6]
	s_delay_alu instid0(VALU_DEP_1) | instskip(SKIP_3) | instid1(VALU_DEP_4)
	v_mov_b32_e32 v18, v15
	v_mad_co_u64_u32 v[22:23], null, s17, v19, v[6:7]
	v_mov_b32_e32 v19, v30
	v_mad_co_u64_u32 v[31:32], null, s16, v26, 0
	v_lshlrev_b64_e32 v[17:18], 4, v[17:18]
	s_clause 0x1
	global_load_b128 v[1:4], v[1:2], off
	global_load_b128 v[5:8], v[8:9], off
	v_mad_co_u64_u32 v[24:25], null, s17, v24, v[19:20]
	v_lshlrev_b64_e32 v[21:22], 4, v[21:22]
	s_clause 0x1
	global_load_b128 v[9:12], v[10:11], off
	global_load_b128 v[13:16], v[13:14], off
	v_mov_b32_e32 v23, v32
	v_add_co_u32 v17, vcc_lo, v53, v17
	s_wait_alu 0xfffd
	v_add_co_ci_u32_e32 v18, vcc_lo, v54, v18, vcc_lo
	v_mov_b32_e32 v30, v24
	v_mad_co_u64_u32 v[25:26], null, s17, v26, v[23:24]
	v_add_nc_u32_e32 v33, 0x68, v255
	v_add_co_u32 v26, vcc_lo, v53, v21
	s_wait_alu 0xfffd
	v_add_co_ci_u32_e32 v27, vcc_lo, v54, v22, vcc_lo
	s_delay_alu instid0(VALU_DEP_4)
	v_mov_b32_e32 v32, v25
	v_mad_co_u64_u32 v[37:38], null, s16, v33, 0
	s_clause 0x1
	global_load_b128 v[21:24], v[17:18], off
	global_load_b128 v[25:28], v[26:27], off
	v_lshlrev_b64_e32 v[17:18], 4, v[29:30]
	v_lshlrev_b64_e32 v[29:30], 4, v[31:32]
	v_mov_b32_e32 v19, v38
	s_delay_alu instid0(VALU_DEP_3) | instskip(SKIP_1) | instid1(VALU_DEP_4)
	v_add_co_u32 v17, vcc_lo, v53, v17
	s_wait_alu 0xfffd
	v_add_co_ci_u32_e32 v18, vcc_lo, v54, v18, vcc_lo
	s_delay_alu instid0(VALU_DEP_3)
	v_mad_co_u64_u32 v[31:32], null, s17, v33, v[19:20]
	v_add_nc_u32_e32 v32, 0x82, v255
	v_add_nc_u32_e32 v35, 0x75, v255
	v_add_co_u32 v33, vcc_lo, v53, v29
	s_wait_alu 0xfffd
	v_add_co_ci_u32_e32 v34, vcc_lo, v54, v30, vcc_lo
	v_mov_b32_e32 v38, v31
	v_mad_co_u64_u32 v[39:40], null, s16, v35, 0
	v_mad_co_u64_u32 v[41:42], null, s16, v32, 0
	s_delay_alu instid0(VALU_DEP_2) | instskip(NEXT) | instid1(VALU_DEP_1)
	v_mov_b32_e32 v19, v40
	v_mad_co_u64_u32 v[45:46], null, s17, v35, v[19:20]
	s_delay_alu instid0(VALU_DEP_1) | instskip(NEXT) | instid1(VALU_DEP_1)
	v_dual_mov_b32 v29, v42 :: v_dual_mov_b32 v40, v45
	v_mad_co_u64_u32 v[46:47], null, s17, v32, v[29:30]
	v_add_nc_u32_e32 v49, 0x9c, v255
	s_clause 0x1
	global_load_b128 v[29:32], v[17:18], off
	global_load_b128 v[33:36], v[33:34], off
	v_lshlrev_b64_e32 v[18:19], 4, v[37:38]
	v_dual_mov_b32 v17, v44 :: v_dual_mov_b32 v42, v46
	v_mad_co_u64_u32 v[47:48], null, s16, v49, 0
	s_delay_alu instid0(VALU_DEP_2)
	v_mad_co_u64_u32 v[37:38], null, s17, v50, v[17:18]
	v_add_co_u32 v18, vcc_lo, v53, v18
	v_lshlrev_b64_e32 v[38:39], 4, v[39:40]
	v_lshlrev_b64_e32 v[40:41], 4, v[41:42]
	v_mov_b32_e32 v17, v48
	s_wait_alu 0xfffd
	v_add_co_ci_u32_e32 v19, vcc_lo, v54, v19, vcc_lo
	v_mov_b32_e32 v44, v37
	s_delay_alu instid0(VALU_DEP_3) | instskip(SKIP_1) | instid1(VALU_DEP_3)
	v_mad_co_u64_u32 v[45:46], null, s17, v49, v[17:18]
	v_add_co_u32 v49, vcc_lo, v53, v38
	v_lshlrev_b64_e32 v[37:38], 4, v[43:44]
	s_wait_alu 0xfffd
	v_add_co_ci_u32_e32 v50, vcc_lo, v54, v39, vcc_lo
	s_delay_alu instid0(VALU_DEP_4) | instskip(SKIP_3) | instid1(VALU_DEP_3)
	v_dual_mov_b32 v48, v45 :: v_dual_lshlrev_b32 v17, 4, v255
	v_add_co_u32 v45, vcc_lo, v53, v40
	s_wait_alu 0xfffd
	v_add_co_ci_u32_e32 v46, vcc_lo, v54, v41, vcc_lo
	v_lshlrev_b64_e32 v[39:40], 4, v[47:48]
	v_add_co_u32 v51, vcc_lo, v53, v37
	s_wait_alu 0xfffd
	v_add_co_ci_u32_e32 v52, vcc_lo, v54, v38, vcc_lo
	s_delay_alu instid0(VALU_DEP_3)
	v_add_co_u32 v53, vcc_lo, v53, v39
	s_wait_alu 0xfffd
	v_add_co_ci_u32_e32 v54, vcc_lo, v54, v40, vcc_lo
	s_clause 0x4
	global_load_b128 v[37:40], v[18:19], off
	global_load_b128 v[41:44], v[49:50], off
	global_load_b128 v[45:48], v[45:46], off
	global_load_b128 v[49:52], v[51:52], off
	global_load_b128 v[53:56], v[53:54], off
	scratch_load_b32 v18, off, off offset:4 ; 4-byte Folded Reload
	s_wait_loadcnt 0x0
	v_add3_u32 v17, 0, v18, v17
	ds_store_b128 v17, v[1:4]
	ds_store_b128 v17, v[5:8] offset:208
	ds_store_b128 v17, v[9:12] offset:416
	;; [unrolled: 1-line block ×12, first 2 shown]
.LBB0_16:
	s_or_b32 exec_lo, exec_lo, s26
	s_wait_kmcnt 0x0
	s_mov_b32 s0, 0
	s_mov_b32 s8, 0x55540000
	s_movk_i32 s9, 0x55
	s_wait_alu 0xfffe
	s_mov_b32 s1, s0
	s_mov_b32 s19, s0
	s_wait_alu 0xfffe
	s_add_nc_u64 s[8:9], s[0:1], s[8:9]
	v_mul_hi_u32 v5, 0x13b13b14, v0
	s_add_co_i32 s9, s9, 0x15555500
	s_mov_b32 s44, 0x4267c47c
	s_mul_u64 s[10:11], s[8:9], -12
	s_mov_b32 s42, 0x42a4c3d2
	s_mul_hi_u32 s17, s8, s11
	s_mul_i32 s16, s8, s11
	s_mul_hi_u32 s18, s8, s10
	s_mul_hi_u32 s1, s9, s10
	s_mul_i32 s10, s9, s10
	s_wait_alu 0xfffe
	s_add_nc_u64 s[16:17], s[18:19], s[16:17]
	s_mul_hi_u32 s18, s9, s11
	s_wait_alu 0xfffe
	s_add_co_u32 s10, s16, s10
	s_add_co_ci_u32 s10, s17, s1
	s_add_co_ci_u32 s17, s18, 0
	s_mul_i32 s16, s9, s11
	s_mov_b32 s11, s0
	s_mov_b32 s38, 0x66966769
	s_wait_alu 0xfffe
	s_add_nc_u64 s[0:1], s[10:11], s[16:17]
	s_mov_b32 s30, 0x2ef20147
	s_wait_alu 0xfffe
	v_add_co_u32 v3, s0, s8, s0
	s_delay_alu instid0(VALU_DEP_1) | instskip(SKIP_4) | instid1(VALU_DEP_2)
	s_cmp_lg_u32 s0, 0
	v_add_co_u32 v63, s0, s24, v5
	s_add_co_ci_u32 s1, s9, s1
	v_add_co_ci_u32_e64 v6, null, s25, 0, s0
	s_wait_alu 0xfffe
	v_mad_co_u64_u32 v[1:2], null, v63, s1, 0
	v_mul_hi_u32 v7, v63, v3
	s_delay_alu instid0(VALU_DEP_3)
	v_mad_co_u64_u32 v[3:4], null, v6, v3, 0
	s_mov_b32 s28, 0x24c2f84
	s_mov_b32 s26, 0x4bc48dbf
	;; [unrolled: 1-line block ×5, first 2 shown]
	s_delay_alu instid0(VALU_DEP_2) | instskip(SKIP_3) | instid1(VALU_DEP_3)
	v_add_co_u32 v7, vcc_lo, v7, v1
	s_wait_alu 0xfffd
	v_add_co_ci_u32_e32 v8, vcc_lo, 0, v2, vcc_lo
	v_mad_co_u64_u32 v[1:2], null, v6, s1, 0
	v_add_co_u32 v3, vcc_lo, v7, v3
	s_wait_alu 0xfffd
	s_delay_alu instid0(VALU_DEP_3)
	v_add_co_ci_u32_e32 v3, vcc_lo, v8, v4, vcc_lo
	s_load_b64 s[0:1], s[6:7], 0x0
	global_wb scope:SCOPE_SE
	s_wait_storecnt_dscnt 0x0
	v_add_co_ci_u32_e32 v2, vcc_lo, 0, v2, vcc_lo
	v_add_co_u32 v1, vcc_lo, v3, v1
	s_wait_kmcnt 0x0
	s_barrier_signal -1
	s_wait_alu 0xfffd
	v_add_co_ci_u32_e32 v3, vcc_lo, 0, v2, vcc_lo
	v_mad_co_u64_u32 v[1:2], null, v1, 12, 0
	s_barrier_wait -1
	global_inv scope:SCOPE_SE
	s_mov_b32 s45, 0xbfddbe06
	s_mov_b32 s43, 0xbfea55e2
	;; [unrolled: 1-line block ×4, first 2 shown]
	v_mad_co_u64_u32 v[2:3], null, v3, 12, v[2:3]
	v_sub_co_u32 v1, vcc_lo, v63, v1
	s_mov_b32 s29, 0xbfe5384d
	s_mov_b32 s27, 0xbfcea1e5
	;; [unrolled: 1-line block ×4, first 2 shown]
	s_wait_alu 0xfffd
	s_delay_alu instid0(VALU_DEP_2) | instskip(SKIP_3) | instid1(VALU_DEP_2)
	v_sub_co_ci_u32_e32 v2, vcc_lo, v6, v2, vcc_lo
	v_sub_co_u32 v3, vcc_lo, v1, 12
	s_mov_b32 s9, 0xbfe7f3cc
	s_wait_alu 0xfffd
	v_subrev_co_ci_u32_e32 v4, vcc_lo, 0, v2, vcc_lo
	s_delay_alu instid0(VALU_DEP_2)
	v_cmp_lt_u32_e32 vcc_lo, 11, v3
	s_mov_b32 s18, 0xe00740e9
	s_mov_b32 s10, 0xb2365da1
	;; [unrolled: 1-line block ×4, first 2 shown]
	s_wait_alu 0xfffd
	v_cndmask_b32_e64 v6, 0, -1, vcc_lo
	v_cmp_lt_u32_e32 vcc_lo, 11, v1
	s_mov_b32 s11, 0xbfd6b1d8
	s_mov_b32 s7, 0xbfef11f4
	;; [unrolled: 1-line block ×4, first 2 shown]
	s_wait_alu 0xfffd
	v_cndmask_b32_e64 v7, 0, -1, vcc_lo
	v_cmp_eq_u32_e32 vcc_lo, 0, v4
	s_mov_b32 s37, 0x3fe5384d
	s_mov_b32 s48, s42
	;; [unrolled: 1-line block ×4, first 2 shown]
	s_wait_alu 0xfffd
	v_cndmask_b32_e32 v4, -1, v6, vcc_lo
	v_cmp_eq_u32_e32 vcc_lo, 0, v2
	v_add_nc_u32_e32 v6, -12, v3
	s_mov_b32 s51, 0x3fddbe06
	s_mov_b32 s41, 0x3fedeba7
	;; [unrolled: 1-line block ×3, first 2 shown]
	s_wait_alu 0xfffd
	v_cndmask_b32_e32 v2, -1, v7, vcc_lo
	v_cmp_ne_u32_e32 vcc_lo, 0, v4
	s_mov_b32 s50, s44
	s_mov_b32 s40, s30
	s_mov_b32 s34, s26
	s_add_co_i32 s52, 0, 0x7ec0
	s_wait_alu 0xfffd
	v_cndmask_b32_e32 v3, v3, v6, vcc_lo
	v_cmp_ne_u32_e32 vcc_lo, 0, v2
	v_mul_u32_u24_e32 v2, 13, v5
	s_wait_alu 0xfffd
	s_delay_alu instid0(VALU_DEP_3) | instskip(NEXT) | instid1(VALU_DEP_2)
	v_cndmask_b32_e32 v1, v1, v3, vcc_lo
	v_sub_nc_u32_e32 v62, v0, v2
	s_delay_alu instid0(VALU_DEP_2) | instskip(NEXT) | instid1(VALU_DEP_1)
	v_mul_u32_u24_e32 v1, 0xa9, v1
	v_lshlrev_b32_e32 v0, 4, v1
	s_delay_alu instid0(VALU_DEP_3) | instskip(NEXT) | instid1(VALU_DEP_2)
	v_lshlrev_b32_e32 v1, 4, v62
	v_add_nc_u32_e32 v64, 0, v0
	s_delay_alu instid0(VALU_DEP_2) | instskip(NEXT) | instid1(VALU_DEP_2)
	v_add3_u32 v180, 0, v1, v0
	v_add_nc_u32_e32 v61, v64, v1
	ds_load_b128 v[8:11], v180 offset:208
	ds_load_b128 v[0:3], v61
	ds_load_b128 v[4:7], v180 offset:416
	ds_load_b128 v[12:15], v180 offset:624
	s_wait_dscnt 0x2
	v_add_f64_e32 v[16:17], v[0:1], v[8:9]
	v_add_f64_e32 v[18:19], v[2:3], v[10:11]
	s_wait_dscnt 0x1
	s_delay_alu instid0(VALU_DEP_2) | instskip(NEXT) | instid1(VALU_DEP_2)
	v_add_f64_e32 v[16:17], v[16:17], v[4:5]
	v_add_f64_e32 v[18:19], v[18:19], v[6:7]
	s_wait_dscnt 0x0
	s_delay_alu instid0(VALU_DEP_2) | instskip(NEXT) | instid1(VALU_DEP_2)
	v_add_f64_e32 v[21:22], v[16:17], v[12:13]
	v_add_f64_e32 v[23:24], v[18:19], v[14:15]
	ds_load_b128 v[16:19], v180 offset:832
	ds_load_b128 v[27:30], v180 offset:1040
	s_wait_dscnt 0x1
	v_add_f64_e32 v[21:22], v[21:22], v[16:17]
	v_add_f64_e32 v[23:24], v[23:24], v[18:19]
	s_wait_dscnt 0x0
	s_delay_alu instid0(VALU_DEP_2) | instskip(NEXT) | instid1(VALU_DEP_2)
	v_add_f64_e32 v[21:22], v[21:22], v[27:28]
	v_add_f64_e32 v[31:32], v[23:24], v[29:30]
	ds_load_b128 v[23:26], v180 offset:1248
	ds_load_b128 v[35:38], v180 offset:1456
	s_wait_dscnt 0x0
	v_add_f64_e64 v[33:34], v[25:26], -v[37:38]
	v_add_f64_e32 v[39:40], v[21:22], v[23:24]
	v_add_f64_e32 v[41:42], v[31:32], v[25:26]
	;; [unrolled: 1-line block ×4, first 2 shown]
	v_add_f64_e64 v[23:24], v[23:24], -v[35:36]
	v_mul_f64_e32 v[121:122], s[26:27], v[33:34]
	s_wait_alu 0xfffe
	v_mul_f64_e32 v[141:142], s[50:51], v[33:34]
	v_mul_f64_e32 v[157:158], s[28:29], v[33:34]
	v_mul_f64_e32 v[193:194], s[48:49], v[33:34]
	v_add_f64_e32 v[47:48], v[39:40], v[35:36]
	v_add_f64_e32 v[49:50], v[41:42], v[37:38]
	ds_load_b128 v[39:42], v180 offset:1664
	ds_load_b128 v[43:46], v180 offset:1872
	v_mul_f64_e32 v[123:124], s[6:7], v[31:32]
	v_mul_f64_e32 v[143:144], s[18:19], v[31:32]
	;; [unrolled: 1-line block ×5, first 2 shown]
	s_wait_dscnt 0x1
	v_add_f64_e32 v[35:36], v[29:30], v[41:42]
	v_add_f64_e64 v[37:38], v[29:30], -v[41:42]
	s_wait_dscnt 0x0
	v_add_f64_e32 v[29:30], v[16:17], v[43:44]
	v_add_f64_e64 v[16:17], v[16:17], -v[43:44]
	v_add_f64_e32 v[25:26], v[27:28], v[39:40]
	v_add_f64_e64 v[27:28], v[27:28], -v[39:40]
	v_add_f64_e32 v[47:48], v[47:48], v[39:40]
	v_add_f64_e32 v[41:42], v[49:50], v[41:42]
	ds_load_b128 v[49:52], v180 offset:2080
	ds_load_b128 v[53:56], v180 offset:2288
	v_add_f64_e32 v[39:40], v[18:19], v[45:46]
	v_add_f64_e64 v[18:19], v[18:19], -v[45:46]
	v_mul_f64_e32 v[119:120], s[8:9], v[35:36]
	v_mul_f64_e32 v[117:118], s[28:29], v[37:38]
	;; [unrolled: 1-line block ×8, first 2 shown]
	v_add_f64_e32 v[43:44], v[47:48], v[43:44]
	v_add_f64_e32 v[57:58], v[41:42], v[45:46]
	s_wait_dscnt 0x1
	v_add_f64_e32 v[41:42], v[12:13], v[49:50]
	v_add_f64_e32 v[45:46], v[14:15], v[51:52]
	v_add_f64_e64 v[12:13], v[12:13], -v[49:50]
	v_add_f64_e64 v[47:48], v[14:15], -v[51:52]
	s_wait_dscnt 0x0
	v_add_f64_e32 v[14:15], v[4:5], v[53:54]
	v_mul_f64_e32 v[113:114], s[30:31], v[18:19]
	v_mul_f64_e32 v[115:116], s[10:11], v[39:40]
	v_mul_f64_e32 v[133:134], s[36:37], v[18:19]
	v_mul_f64_e32 v[135:136], s[8:9], v[39:40]
	v_mul_f64_e32 v[149:150], s[50:51], v[18:19]
	v_mul_f64_e32 v[151:152], s[18:19], v[39:40]
	v_mul_f64_e32 v[185:186], s[38:39], v[18:19]
	v_mul_f64_e32 v[187:188], s[16:17], v[39:40]
	v_add_f64_e32 v[59:60], v[43:44], v[49:50]
	v_add_f64_e32 v[65:66], v[57:58], v[51:52]
	v_add_f64_e64 v[51:52], v[6:7], -v[55:56]
	v_add_f64_e32 v[49:50], v[6:7], v[55:56]
	v_add_f64_e64 v[43:44], v[4:5], -v[53:54]
	ds_load_b128 v[4:7], v180 offset:2496
	v_mul_f64_e32 v[109:110], s[38:39], v[47:48]
	v_mul_f64_e32 v[111:112], s[16:17], v[45:46]
	;; [unrolled: 1-line block ×6, first 2 shown]
	global_wb scope:SCOPE_SE
	s_wait_dscnt 0x0
	s_barrier_signal -1
	s_barrier_wait -1
	global_inv scope:SCOPE_SE
	v_add_f64_e32 v[57:58], v[59:60], v[53:54]
	v_add_f64_e32 v[59:60], v[65:66], v[55:56]
	v_add_f64_e64 v[55:56], v[10:11], -v[6:7]
	v_add_f64_e32 v[10:11], v[10:11], v[6:7]
	v_add_f64_e32 v[53:54], v[8:9], v[4:5]
	v_add_f64_e64 v[8:9], v[8:9], -v[4:5]
	v_mul_f64_e32 v[105:106], s[42:43], v[51:52]
	v_mul_f64_e32 v[107:108], s[24:25], v[49:50]
	;; [unrolled: 1-line block ×10, first 2 shown]
	v_add_f64_e32 v[4:5], v[57:58], v[4:5]
	v_add_f64_e32 v[6:7], v[59:60], v[6:7]
	v_mul_f64_e32 v[57:58], s[44:45], v[55:56]
	v_mul_f64_e32 v[59:60], s[42:43], v[55:56]
	;; [unrolled: 1-line block ×10, first 2 shown]
	v_fma_f64 v[71:72], v[53:54], s[18:19], v[57:58]
	v_fma_f64 v[57:58], v[53:54], s[18:19], -v[57:58]
	v_fma_f64 v[73:74], v[53:54], s[24:25], v[59:60]
	v_fma_f64 v[59:60], v[53:54], s[24:25], -v[59:60]
	;; [unrolled: 2-line block ×6, first 2 shown]
	v_mul_f64_e32 v[55:56], s[18:19], v[10:11]
	v_mul_f64_e32 v[10:11], s[6:7], v[10:11]
	v_fma_f64 v[93:94], v[8:9], s[48:49], v[83:84]
	v_fma_f64 v[95:96], v[8:9], s[46:47], v[85:86]
	;; [unrolled: 1-line block ×8, first 2 shown]
	v_add_f64_e32 v[103:104], v[0:1], v[71:72]
	v_add_f64_e32 v[69:70], v[0:1], v[69:70]
	;; [unrolled: 1-line block ×3, first 2 shown]
	v_fma_f64 v[91:92], v[8:9], s[50:51], v[55:56]
	v_fma_f64 v[55:56], v[8:9], s[44:45], v[55:56]
	;; [unrolled: 1-line block ×4, first 2 shown]
	v_add_f64_e32 v[10:11], v[0:1], v[57:58]
	v_add_f64_e32 v[57:58], v[0:1], v[73:74]
	;; [unrolled: 1-line block ×12, first 2 shown]
	v_fma_f64 v[0:1], v[14:15], s[24:25], -v[105:106]
	v_add_f64_e32 v[83:84], v[2:3], v[83:84]
	v_add_f64_e32 v[85:86], v[2:3], v[85:86]
	v_add_f64_e32 v[77:78], v[2:3], v[97:98]
	v_add_f64_e32 v[87:88], v[2:3], v[87:88]
	v_add_f64_e32 v[89:90], v[2:3], v[89:90]
	v_fma_f64 v[53:54], v[41:42], s[6:7], v[129:130]
	v_add_f64_e32 v[91:92], v[2:3], v[91:92]
	v_add_f64_e32 v[55:56], v[2:3], v[55:56]
	;; [unrolled: 1-line block ×4, first 2 shown]
	v_fma_f64 v[2:3], v[43:44], s[42:43], v[107:108]
	v_fma_f64 v[8:9], v[41:42], s[16:17], -v[109:110]
	v_add_f64_e32 v[0:1], v[0:1], v[10:11]
	v_fma_f64 v[10:11], v[43:44], s[40:41], v[127:128]
	s_delay_alu instid0(VALU_DEP_4) | instskip(SKIP_1) | instid1(VALU_DEP_4)
	v_add_f64_e32 v[2:3], v[2:3], v[55:56]
	v_fma_f64 v[55:56], v[43:44], s[34:35], v[145:146]
	v_add_f64_e32 v[0:1], v[8:9], v[0:1]
	v_fma_f64 v[8:9], v[12:13], s[38:39], v[111:112]
	v_add_f64_e32 v[10:11], v[10:11], v[71:72]
	v_mul_f64_e32 v[71:72], s[26:27], v[51:52]
	v_mul_f64_e32 v[51:52], s[50:51], v[51:52]
	v_add_f64_e32 v[55:56], v[55:56], v[75:76]
	v_mul_f64_e32 v[75:76], s[40:41], v[47:48]
	v_add_f64_e32 v[2:3], v[8:9], v[2:3]
	v_fma_f64 v[8:9], v[29:30], s[10:11], -v[113:114]
	s_delay_alu instid0(VALU_DEP_1) | instskip(SKIP_1) | instid1(VALU_DEP_1)
	v_add_f64_e32 v[0:1], v[8:9], v[0:1]
	v_fma_f64 v[8:9], v[16:17], s[30:31], v[115:116]
	v_add_f64_e32 v[2:3], v[8:9], v[2:3]
	v_fma_f64 v[8:9], v[25:26], s[8:9], -v[117:118]
	s_delay_alu instid0(VALU_DEP_1) | instskip(SKIP_1) | instid1(VALU_DEP_1)
	v_add_f64_e32 v[0:1], v[8:9], v[0:1]
	v_fma_f64 v[8:9], v[27:28], s[28:29], v[119:120]
	;; [unrolled: 5-line block ×3, first 2 shown]
	v_add_f64_e32 v[2:3], v[8:9], v[2:3]
	v_fma_f64 v[8:9], v[14:15], s[10:11], v[125:126]
	s_delay_alu instid0(VALU_DEP_1) | instskip(SKIP_1) | instid1(VALU_DEP_2)
	v_add_f64_e32 v[8:9], v[8:9], v[57:58]
	v_fma_f64 v[57:58], v[41:42], s[10:11], v[75:76]
	v_add_f64_e32 v[8:9], v[53:54], v[8:9]
	v_fma_f64 v[53:54], v[12:13], s[34:35], v[131:132]
	s_delay_alu instid0(VALU_DEP_1) | instskip(SKIP_1) | instid1(VALU_DEP_1)
	v_add_f64_e32 v[10:11], v[53:54], v[10:11]
	v_fma_f64 v[53:54], v[29:30], s[8:9], v[133:134]
	v_add_f64_e32 v[8:9], v[53:54], v[8:9]
	v_fma_f64 v[53:54], v[16:17], s[28:29], v[135:136]
	s_delay_alu instid0(VALU_DEP_1) | instskip(SKIP_1) | instid1(VALU_DEP_1)
	;; [unrolled: 5-line block ×4, first 2 shown]
	v_add_f64_e32 v[10:11], v[53:54], v[10:11]
	v_fma_f64 v[53:54], v[14:15], s[6:7], v[71:72]
	v_add_f64_e32 v[53:54], v[53:54], v[59:60]
	v_fma_f64 v[59:60], v[43:44], s[28:29], v[181:182]
	s_delay_alu instid0(VALU_DEP_2) | instskip(SKIP_1) | instid1(VALU_DEP_3)
	v_add_f64_e32 v[53:54], v[57:58], v[53:54]
	v_fma_f64 v[57:58], v[12:13], s[30:31], v[147:148]
	v_add_f64_e32 v[59:60], v[59:60], v[77:78]
	v_mul_f64_e32 v[77:78], s[50:51], v[47:48]
	s_delay_alu instid0(VALU_DEP_3) | instskip(SKIP_1) | instid1(VALU_DEP_1)
	v_add_f64_e32 v[55:56], v[57:58], v[55:56]
	v_fma_f64 v[57:58], v[29:30], s[18:19], v[149:150]
	v_add_f64_e32 v[53:54], v[57:58], v[53:54]
	v_fma_f64 v[57:58], v[16:17], s[44:45], v[151:152]
	s_delay_alu instid0(VALU_DEP_1) | instskip(SKIP_1) | instid1(VALU_DEP_1)
	v_add_f64_e32 v[55:56], v[57:58], v[55:56]
	v_fma_f64 v[57:58], v[25:26], s[24:25], v[153:154]
	v_add_f64_e32 v[53:54], v[57:58], v[53:54]
	v_fma_f64 v[57:58], v[27:28], s[48:49], v[155:156]
	s_delay_alu instid0(VALU_DEP_1) | instskip(SKIP_1) | instid1(VALU_DEP_1)
	;; [unrolled: 5-line block ×8, first 2 shown]
	v_add_f64_e32 v[65:66], v[65:66], v[67:68]
	v_fma_f64 v[67:68], v[43:44], s[38:39], v[199:200]
	v_add_f64_e32 v[67:68], v[67:68], v[79:80]
	v_mul_f64_e32 v[79:80], s[42:43], v[47:48]
	v_mul_f64_e32 v[47:48], s[28:29], v[47:48]
	s_delay_alu instid0(VALU_DEP_2) | instskip(NEXT) | instid1(VALU_DEP_1)
	v_fma_f64 v[201:202], v[41:42], s[24:25], v[79:80]
	v_add_f64_e32 v[65:66], v[201:202], v[65:66]
	v_mul_f64_e32 v[201:202], s[24:25], v[45:46]
	v_mul_f64_e32 v[45:46], s[8:9], v[45:46]
	s_delay_alu instid0(VALU_DEP_2) | instskip(NEXT) | instid1(VALU_DEP_1)
	;; [unrolled: 5-line block ×6, first 2 shown]
	v_fma_f64 v[211:212], v[27:28], s[44:45], v[209:210]
	v_add_f64_e32 v[67:68], v[211:212], v[67:68]
	v_mul_f64_e32 v[211:212], s[30:31], v[33:34]
	s_delay_alu instid0(VALU_DEP_1) | instskip(NEXT) | instid1(VALU_DEP_1)
	v_fma_f64 v[213:214], v[21:22], s[10:11], v[211:212]
	v_add_f64_e32 v[65:66], v[213:214], v[65:66]
	v_mul_f64_e32 v[213:214], s[10:11], v[31:32]
	s_delay_alu instid0(VALU_DEP_1) | instskip(NEXT) | instid1(VALU_DEP_1)
	v_fma_f64 v[215:216], v[23:24], s[40:41], v[213:214]
	v_add_f64_e32 v[67:68], v[215:216], v[67:68]
	v_fma_f64 v[215:216], v[14:15], s[18:19], v[51:52]
	v_fma_f64 v[51:52], v[14:15], s[18:19], -v[51:52]
	s_delay_alu instid0(VALU_DEP_2) | instskip(SKIP_2) | instid1(VALU_DEP_4)
	v_add_f64_e32 v[81:82], v[215:216], v[81:82]
	v_fma_f64 v[215:216], v[43:44], s[44:45], v[49:50]
	v_fma_f64 v[49:50], v[43:44], s[50:51], v[49:50]
	v_add_f64_e32 v[51:52], v[51:52], v[99:100]
	s_delay_alu instid0(VALU_DEP_3) | instskip(SKIP_1) | instid1(VALU_DEP_4)
	v_add_f64_e32 v[97:98], v[215:216], v[97:98]
	v_fma_f64 v[215:216], v[41:42], s[8:9], v[47:48]
	v_add_f64_e32 v[49:50], v[49:50], v[101:102]
	v_fma_f64 v[47:48], v[41:42], s[8:9], -v[47:48]
	s_delay_alu instid0(VALU_DEP_3) | instskip(SKIP_2) | instid1(VALU_DEP_4)
	v_add_f64_e32 v[81:82], v[215:216], v[81:82]
	v_fma_f64 v[215:216], v[12:13], s[36:37], v[45:46]
	v_fma_f64 v[45:46], v[12:13], s[28:29], v[45:46]
	v_add_f64_e32 v[47:48], v[47:48], v[51:52]
	v_fma_f64 v[51:52], v[23:24], s[48:49], v[195:196]
	s_delay_alu instid0(VALU_DEP_4) | instskip(SKIP_4) | instid1(VALU_DEP_4)
	v_add_f64_e32 v[97:98], v[215:216], v[97:98]
	v_fma_f64 v[215:216], v[29:30], s[24:25], v[18:19]
	v_add_f64_e32 v[45:46], v[45:46], v[49:50]
	v_fma_f64 v[18:19], v[29:30], s[24:25], -v[18:19]
	v_fma_f64 v[49:50], v[41:42], s[18:19], -v[77:78]
	v_add_f64_e32 v[81:82], v[215:216], v[81:82]
	v_fma_f64 v[215:216], v[16:17], s[42:43], v[39:40]
	v_fma_f64 v[39:40], v[16:17], s[48:49], v[39:40]
	v_add_f64_e32 v[18:19], v[18:19], v[47:48]
	v_fma_f64 v[47:48], v[23:24], s[30:31], v[213:214]
	s_delay_alu instid0(VALU_DEP_4) | instskip(SKIP_4) | instid1(VALU_DEP_4)
	v_add_f64_e32 v[97:98], v[215:216], v[97:98]
	v_fma_f64 v[215:216], v[25:26], s[10:11], v[37:38]
	v_add_f64_e32 v[39:40], v[39:40], v[45:46]
	v_fma_f64 v[37:38], v[25:26], s[10:11], -v[37:38]
	v_fma_f64 v[45:46], v[41:42], s[24:25], -v[79:80]
	v_add_f64_e32 v[81:82], v[215:216], v[81:82]
	v_fma_f64 v[215:216], v[27:28], s[40:41], v[35:36]
	v_fma_f64 v[35:36], v[27:28], s[30:31], v[35:36]
	v_add_f64_e32 v[18:19], v[37:38], v[18:19]
	s_delay_alu instid0(VALU_DEP_3) | instskip(SKIP_1) | instid1(VALU_DEP_4)
	v_add_f64_e32 v[97:98], v[215:216], v[97:98]
	v_mul_f64_e32 v[215:216], s[46:47], v[33:34]
	v_add_f64_e32 v[37:38], v[35:36], v[39:40]
	v_fma_f64 v[39:40], v[23:24], s[46:47], v[217:218]
	v_fma_f64 v[33:34], v[23:24], s[38:39], v[217:218]
	s_delay_alu instid0(VALU_DEP_4) | instskip(SKIP_1) | instid1(VALU_DEP_4)
	v_fma_f64 v[35:36], v[21:22], s[16:17], -v[215:216]
	v_fma_f64 v[31:32], v[21:22], s[16:17], v[215:216]
	v_add_f64_e32 v[37:38], v[39:40], v[37:38]
	v_fma_f64 v[39:40], v[43:44], s[46:47], v[199:200]
	v_add_f64_e32 v[33:34], v[33:34], v[97:98]
	v_add_f64_e32 v[35:36], v[35:36], v[18:19]
	v_fma_f64 v[18:19], v[14:15], s[16:17], -v[197:198]
	v_add_f64_e32 v[31:32], v[31:32], v[81:82]
	v_add_f64_e32 v[39:40], v[39:40], v[89:90]
	s_delay_alu instid0(VALU_DEP_3) | instskip(SKIP_2) | instid1(VALU_DEP_3)
	v_add_f64_e32 v[18:19], v[18:19], v[69:70]
	v_fma_f64 v[69:70], v[41:42], s[10:11], -v[75:76]
	v_fma_f64 v[75:76], v[23:24], s[50:51], v[143:144]
	v_add_f64_e32 v[18:19], v[45:46], v[18:19]
	v_fma_f64 v[45:46], v[12:13], s[42:43], v[201:202]
	s_delay_alu instid0(VALU_DEP_1) | instskip(SKIP_1) | instid1(VALU_DEP_1)
	v_add_f64_e32 v[39:40], v[45:46], v[39:40]
	v_fma_f64 v[45:46], v[29:30], s[6:7], -v[203:204]
	v_add_f64_e32 v[18:19], v[45:46], v[18:19]
	v_fma_f64 v[45:46], v[16:17], s[34:35], v[205:206]
	s_delay_alu instid0(VALU_DEP_1) | instskip(SKIP_1) | instid1(VALU_DEP_1)
	v_add_f64_e32 v[39:40], v[45:46], v[39:40]
	v_fma_f64 v[45:46], v[25:26], s[18:19], -v[207:208]
	v_add_f64_e32 v[18:19], v[45:46], v[18:19]
	v_fma_f64 v[45:46], v[27:28], s[50:51], v[209:210]
	s_delay_alu instid0(VALU_DEP_1) | instskip(SKIP_1) | instid1(VALU_DEP_2)
	v_add_f64_e32 v[39:40], v[45:46], v[39:40]
	v_fma_f64 v[45:46], v[21:22], s[10:11], -v[211:212]
	v_add_f64_e32 v[47:48], v[47:48], v[39:40]
	s_delay_alu instid0(VALU_DEP_2) | instskip(SKIP_2) | instid1(VALU_DEP_2)
	v_add_f64_e32 v[45:46], v[45:46], v[18:19]
	v_fma_f64 v[18:19], v[14:15], s[8:9], -v[161:162]
	v_fma_f64 v[39:40], v[43:44], s[36:37], v[181:182]
	v_add_f64_e32 v[18:19], v[18:19], v[95:96]
	s_delay_alu instid0(VALU_DEP_2) | instskip(NEXT) | instid1(VALU_DEP_2)
	v_add_f64_e32 v[39:40], v[39:40], v[87:88]
	v_add_f64_e32 v[18:19], v[49:50], v[18:19]
	v_fma_f64 v[49:50], v[12:13], s[50:51], v[183:184]
	s_delay_alu instid0(VALU_DEP_1) | instskip(SKIP_1) | instid1(VALU_DEP_1)
	v_add_f64_e32 v[39:40], v[49:50], v[39:40]
	v_fma_f64 v[49:50], v[29:30], s[16:17], -v[185:186]
	v_add_f64_e32 v[18:19], v[49:50], v[18:19]
	v_fma_f64 v[49:50], v[16:17], s[38:39], v[187:188]
	s_delay_alu instid0(VALU_DEP_1) | instskip(SKIP_1) | instid1(VALU_DEP_1)
	v_add_f64_e32 v[39:40], v[49:50], v[39:40]
	v_fma_f64 v[49:50], v[25:26], s[6:7], -v[189:190]
	v_add_f64_e32 v[18:19], v[49:50], v[18:19]
	v_fma_f64 v[49:50], v[27:28], s[34:35], v[191:192]
	s_delay_alu instid0(VALU_DEP_1) | instskip(SKIP_1) | instid1(VALU_DEP_2)
	v_add_f64_e32 v[39:40], v[49:50], v[39:40]
	v_fma_f64 v[49:50], v[21:22], s[24:25], -v[193:194]
	v_add_f64_e32 v[51:52], v[51:52], v[39:40]
	s_delay_alu instid0(VALU_DEP_2) | instskip(SKIP_3) | instid1(VALU_DEP_3)
	v_add_f64_e32 v[49:50], v[49:50], v[18:19]
	v_fma_f64 v[18:19], v[14:15], s[6:7], -v[71:72]
	v_fma_f64 v[39:40], v[43:44], s[26:27], v[145:146]
	v_fma_f64 v[71:72], v[23:24], s[28:29], v[159:160]
	v_add_f64_e32 v[18:19], v[18:19], v[93:94]
	s_delay_alu instid0(VALU_DEP_3) | instskip(NEXT) | instid1(VALU_DEP_2)
	v_add_f64_e32 v[39:40], v[39:40], v[85:86]
	v_add_f64_e32 v[18:19], v[69:70], v[18:19]
	v_fma_f64 v[69:70], v[12:13], s[40:41], v[147:148]
	s_delay_alu instid0(VALU_DEP_1) | instskip(SKIP_1) | instid1(VALU_DEP_1)
	v_add_f64_e32 v[39:40], v[69:70], v[39:40]
	v_fma_f64 v[69:70], v[29:30], s[18:19], -v[149:150]
	v_add_f64_e32 v[18:19], v[69:70], v[18:19]
	v_fma_f64 v[69:70], v[16:17], s[50:51], v[151:152]
	s_delay_alu instid0(VALU_DEP_1) | instskip(SKIP_1) | instid1(VALU_DEP_1)
	v_add_f64_e32 v[39:40], v[69:70], v[39:40]
	v_fma_f64 v[69:70], v[25:26], s[24:25], -v[153:154]
	v_add_f64_e32 v[18:19], v[69:70], v[18:19]
	v_fma_f64 v[69:70], v[27:28], s[42:43], v[155:156]
	s_delay_alu instid0(VALU_DEP_1) | instskip(SKIP_1) | instid1(VALU_DEP_2)
	v_add_f64_e32 v[39:40], v[69:70], v[39:40]
	v_fma_f64 v[69:70], v[21:22], s[8:9], -v[157:158]
	v_add_f64_e32 v[71:72], v[71:72], v[39:40]
	s_delay_alu instid0(VALU_DEP_2) | instskip(SKIP_3) | instid1(VALU_DEP_3)
	v_add_f64_e32 v[69:70], v[69:70], v[18:19]
	v_fma_f64 v[18:19], v[14:15], s[10:11], -v[125:126]
	v_fma_f64 v[39:40], v[43:44], s[30:31], v[127:128]
	v_fma_f64 v[14:15], v[14:15], s[24:25], v[105:106]
	v_add_f64_e32 v[18:19], v[18:19], v[73:74]
	v_fma_f64 v[73:74], v[41:42], s[6:7], -v[129:130]
	s_delay_alu instid0(VALU_DEP_4) | instskip(NEXT) | instid1(VALU_DEP_4)
	v_add_f64_e32 v[39:40], v[39:40], v[83:84]
	v_add_f64_e32 v[14:15], v[14:15], v[103:104]
	s_delay_alu instid0(VALU_DEP_3) | instskip(SKIP_2) | instid1(VALU_DEP_2)
	v_add_f64_e32 v[18:19], v[73:74], v[18:19]
	v_fma_f64 v[73:74], v[12:13], s[26:27], v[131:132]
	v_fma_f64 v[12:13], v[12:13], s[46:47], v[111:112]
	v_add_f64_e32 v[39:40], v[73:74], v[39:40]
	v_fma_f64 v[73:74], v[29:30], s[8:9], -v[133:134]
	v_fma_f64 v[29:30], v[29:30], s[10:11], v[113:114]
	s_delay_alu instid0(VALU_DEP_2) | instskip(SKIP_2) | instid1(VALU_DEP_2)
	v_add_f64_e32 v[18:19], v[73:74], v[18:19]
	v_fma_f64 v[73:74], v[16:17], s[36:37], v[135:136]
	v_fma_f64 v[16:17], v[16:17], s[40:41], v[115:116]
	v_add_f64_e32 v[39:40], v[73:74], v[39:40]
	v_fma_f64 v[73:74], v[25:26], s[16:17], -v[137:138]
	s_delay_alu instid0(VALU_DEP_1) | instskip(SKIP_1) | instid1(VALU_DEP_1)
	v_add_f64_e32 v[18:19], v[73:74], v[18:19]
	v_fma_f64 v[73:74], v[27:28], s[46:47], v[139:140]
	v_add_f64_e32 v[39:40], v[73:74], v[39:40]
	v_fma_f64 v[73:74], v[21:22], s[18:19], -v[141:142]
	s_delay_alu instid0(VALU_DEP_2) | instskip(NEXT) | instid1(VALU_DEP_2)
	v_add_f64_e32 v[75:76], v[75:76], v[39:40]
	v_add_f64_e32 v[73:74], v[73:74], v[18:19]
	v_fma_f64 v[18:19], v[43:44], s[48:49], v[107:108]
	v_fma_f64 v[39:40], v[41:42], s[16:17], v[109:110]
	s_delay_alu instid0(VALU_DEP_2) | instskip(NEXT) | instid1(VALU_DEP_2)
	v_add_f64_e32 v[18:19], v[18:19], v[91:92]
	v_add_f64_e32 v[14:15], v[39:40], v[14:15]
	s_delay_alu instid0(VALU_DEP_2) | instskip(SKIP_2) | instid1(VALU_DEP_4)
	v_add_f64_e32 v[12:13], v[12:13], v[18:19]
	v_fma_f64 v[18:19], v[25:26], s[8:9], v[117:118]
	v_fma_f64 v[25:26], v[27:28], s[36:37], v[119:120]
	v_add_f64_e32 v[14:15], v[29:30], v[14:15]
	s_delay_alu instid0(VALU_DEP_4) | instskip(SKIP_2) | instid1(VALU_DEP_4)
	v_add_f64_e32 v[12:13], v[16:17], v[12:13]
	v_fma_f64 v[16:17], v[21:22], s[6:7], v[121:122]
	v_fma_f64 v[21:22], v[23:24], s[34:35], v[123:124]
	v_add_f64_e32 v[14:15], v[18:19], v[14:15]
	s_delay_alu instid0(VALU_DEP_4) | instskip(NEXT) | instid1(VALU_DEP_2)
	v_add_f64_e32 v[18:19], v[25:26], v[12:13]
	v_add_f64_e32 v[12:13], v[16:17], v[14:15]
	v_mad_i32_i24 v16, 0xd0, v62, v64
	ds_store_b128 v16, v[8:11] offset:32
	ds_store_b128 v16, v[53:56] offset:48
	;; [unrolled: 1-line block ×5, first 2 shown]
	v_add_f64_e32 v[14:15], v[21:22], v[18:19]
	v_mul_lo_u32 v19, v62, v63
	ds_store_b128 v16, v[35:38] offset:112
	ds_store_b128 v16, v[45:48] offset:128
	;; [unrolled: 1-line block ×7, first 2 shown]
	ds_store_b128 v16, v[4:7]
	v_lshrrev_b32_e32 v8, 1, v19
	v_and_b32_e32 v9, 31, v19
	global_wb scope:SCOPE_SE
	s_wait_dscnt 0x0
	s_barrier_signal -1
	s_barrier_wait -1
	v_and_b32_e32 v8, 0x1f0, v8
	v_lshl_add_u32 v9, v9, 4, 0
	global_inv scope:SCOPE_SE
	v_mul_lo_u32 v18, v63, 13
	v_add_nc_u32_e32 v8, s52, v8
	ds_load_b128 v[0:3], v9 offset:32448
	ds_load_b128 v[4:7], v8 offset:512
	v_add_nc_u32_e32 v21, v19, v18
	v_lshrrev_b32_e32 v19, 6, v19
	s_delay_alu instid0(VALU_DEP_2) | instskip(NEXT) | instid1(VALU_DEP_2)
	v_add_nc_u32_e32 v22, v21, v18
	v_and_b32_e32 v19, 0x1f0, v19
	s_delay_alu instid0(VALU_DEP_2) | instskip(SKIP_1) | instid1(VALU_DEP_3)
	v_lshrrev_b32_e32 v23, 1, v22
	v_and_b32_e32 v24, 31, v22
	v_add_nc_u32_e32 v19, s52, v19
	s_delay_alu instid0(VALU_DEP_3) | instskip(NEXT) | instid1(VALU_DEP_3)
	v_and_b32_e32 v23, 0x1f0, v23
	v_lshl_add_u32 v24, v24, 4, 0
	s_wait_dscnt 0x0
	v_mul_f64_e32 v[14:15], v[2:3], v[6:7]
	v_mul_f64_e32 v[16:17], v[0:1], v[6:7]
	v_lshrrev_b32_e32 v6, 1, v21
	v_and_b32_e32 v7, 31, v21
	v_lshrrev_b32_e32 v21, 6, v21
	v_add_nc_u32_e32 v27, s52, v23
	s_delay_alu instid0(VALU_DEP_4) | instskip(NEXT) | instid1(VALU_DEP_4)
	v_and_b32_e32 v6, 0x1f0, v6
	v_lshl_add_u32 v7, v7, 4, 0
	s_delay_alu instid0(VALU_DEP_4) | instskip(NEXT) | instid1(VALU_DEP_3)
	v_and_b32_e32 v21, 0x1f0, v21
	v_add_nc_u32_e32 v10, s52, v6
	ds_load_b128 v[6:9], v7 offset:32448
	ds_load_b128 v[10:13], v10 offset:512
	v_add_nc_u32_e32 v21, s52, v21
	ds_load_b128 v[23:26], v24 offset:32448
	ds_load_b128 v[27:30], v27 offset:512
	;; [unrolled: 1-line block ×4, first 2 shown]
	v_add_nc_u32_e32 v19, v22, v18
	v_fma_f64 v[110:111], v[0:1], v[4:5], -v[14:15]
	s_wait_dscnt 0x4
	v_mul_f64_e32 v[0:1], v[8:9], v[12:13]
	v_fma_f64 v[112:113], v[2:3], v[4:5], v[16:17]
	v_mul_f64_e32 v[2:3], v[6:7], v[12:13]
	s_wait_dscnt 0x2
	v_mul_f64_e32 v[12:13], v[25:26], v[29:30]
	v_mul_f64_e32 v[14:15], v[23:24], v[29:30]
	v_fma_f64 v[114:115], v[6:7], v[10:11], -v[0:1]
	v_lshrrev_b32_e32 v0, 1, v19
	v_and_b32_e32 v1, 31, v19
	v_fma_f64 v[116:117], v[8:9], v[10:11], v[2:3]
	v_lshrrev_b32_e32 v9, 6, v19
	v_add_nc_u32_e32 v19, v19, v18
	v_and_b32_e32 v0, 0x1f0, v0
	v_lshl_add_u32 v4, v1, 4, 0
	v_lshrrev_b32_e32 v8, 6, v22
	v_and_b32_e32 v9, 0x1f0, v9
	v_fma_f64 v[118:119], v[23:24], v[27:28], -v[12:13]
	v_add_nc_u32_e32 v0, s52, v0
	ds_load_b128 v[0:3], v0 offset:512
	ds_load_b128 v[4:7], v4 offset:32448
	v_and_b32_e32 v8, 0x1f0, v8
	v_add_nc_u32_e32 v12, s52, v9
	v_fma_f64 v[120:121], v[25:26], v[27:28], v[14:15]
	v_add_nc_u32_e32 v21, v19, v18
	s_delay_alu instid0(VALU_DEP_4)
	v_add_nc_u32_e32 v8, s52, v8
	ds_load_b128 v[8:11], v8 offset:1024
	ds_load_b128 v[12:15], v12 offset:1024
	s_wait_dscnt 0x2
	v_mul_f64_e32 v[16:17], v[6:7], v[2:3]
	v_mul_f64_e32 v[2:3], v[4:5], v[2:3]
	s_delay_alu instid0(VALU_DEP_2) | instskip(NEXT) | instid1(VALU_DEP_2)
	v_fma_f64 v[122:123], v[4:5], v[0:1], -v[16:17]
	v_fma_f64 v[124:125], v[6:7], v[0:1], v[2:3]
	v_lshrrev_b32_e32 v0, 1, v19
	v_and_b32_e32 v1, 31, v19
	s_delay_alu instid0(VALU_DEP_2) | instskip(NEXT) | instid1(VALU_DEP_2)
	v_and_b32_e32 v0, 0x1f0, v0
	v_lshl_add_u32 v1, v1, 4, 0
	s_delay_alu instid0(VALU_DEP_2) | instskip(SKIP_4) | instid1(VALU_DEP_1)
	v_add_nc_u32_e32 v4, s52, v0
	ds_load_b128 v[0:3], v1 offset:32448
	ds_load_b128 v[4:7], v4 offset:512
	s_wait_dscnt 0x0
	v_mul_f64_e32 v[16:17], v[2:3], v[6:7]
	v_fma_f64 v[126:127], v[0:1], v[4:5], -v[16:17]
	v_mul_f64_e32 v[0:1], v[0:1], v[6:7]
	s_delay_alu instid0(VALU_DEP_1)
	v_fma_f64 v[128:129], v[2:3], v[4:5], v[0:1]
	v_lshrrev_b32_e32 v0, 1, v21
	v_lshrrev_b32_e32 v1, 6, v19
	v_lshrrev_b32_e32 v2, 6, v21
	v_and_b32_e32 v3, 31, v21
	v_add_nc_u32_e32 v19, v21, v18
	v_and_b32_e32 v0, 0x1f0, v0
	v_and_b32_e32 v1, 0x1f0, v1
	v_and_b32_e32 v2, 0x1f0, v2
	v_lshl_add_u32 v4, v3, 4, 0
	v_add_nc_u32_e32 v21, v19, v18
	v_add_nc_u32_e32 v0, s52, v0
	v_add_nc_u32_e32 v16, s52, v1
	v_add_nc_u32_e32 v17, s52, v2
	ds_load_b128 v[0:3], v0 offset:512
	ds_load_b128 v[4:7], v4 offset:32448
	ds_load_b128 v[78:81], v16 offset:1024
	ds_load_b128 v[82:85], v17 offset:1024
	s_wait_dscnt 0x2
	v_mul_f64_e32 v[16:17], v[6:7], v[2:3]
	v_mul_f64_e32 v[2:3], v[4:5], v[2:3]
	s_delay_alu instid0(VALU_DEP_2) | instskip(NEXT) | instid1(VALU_DEP_2)
	v_fma_f64 v[130:131], v[4:5], v[0:1], -v[16:17]
	v_fma_f64 v[132:133], v[6:7], v[0:1], v[2:3]
	v_lshrrev_b32_e32 v0, 1, v19
	v_and_b32_e32 v1, 31, v19
	s_delay_alu instid0(VALU_DEP_2) | instskip(NEXT) | instid1(VALU_DEP_2)
	v_and_b32_e32 v0, 0x1f0, v0
	v_lshl_add_u32 v1, v1, 4, 0
	s_delay_alu instid0(VALU_DEP_2) | instskip(SKIP_4) | instid1(VALU_DEP_1)
	v_add_nc_u32_e32 v4, s52, v0
	ds_load_b128 v[0:3], v1 offset:32448
	ds_load_b128 v[4:7], v4 offset:512
	s_wait_dscnt 0x0
	v_mul_f64_e32 v[16:17], v[2:3], v[6:7]
	v_fma_f64 v[134:135], v[0:1], v[4:5], -v[16:17]
	v_mul_f64_e32 v[0:1], v[0:1], v[6:7]
	s_delay_alu instid0(VALU_DEP_1)
	v_fma_f64 v[136:137], v[2:3], v[4:5], v[0:1]
	v_lshrrev_b32_e32 v0, 1, v21
	v_lshrrev_b32_e32 v1, 6, v19
	v_lshrrev_b32_e32 v2, 6, v21
	v_and_b32_e32 v3, 31, v21
	v_add_nc_u32_e32 v19, v21, v18
	v_and_b32_e32 v0, 0x1f0, v0
	v_and_b32_e32 v1, 0x1f0, v1
	v_and_b32_e32 v2, 0x1f0, v2
	v_lshl_add_u32 v4, v3, 4, 0
	v_add_nc_u32_e32 v21, v19, v18
	v_add_nc_u32_e32 v0, s52, v0
	v_add_nc_u32_e32 v16, s52, v1
	v_add_nc_u32_e32 v17, s52, v2
	ds_load_b128 v[0:3], v0 offset:512
	ds_load_b128 v[4:7], v4 offset:32448
	ds_load_b128 v[86:89], v16 offset:1024
	ds_load_b128 v[90:93], v17 offset:1024
	s_wait_dscnt 0x2
	v_mul_f64_e32 v[16:17], v[6:7], v[2:3]
	v_mul_f64_e32 v[2:3], v[4:5], v[2:3]
	s_delay_alu instid0(VALU_DEP_2) | instskip(NEXT) | instid1(VALU_DEP_2)
	v_fma_f64 v[138:139], v[4:5], v[0:1], -v[16:17]
	v_fma_f64 v[140:141], v[6:7], v[0:1], v[2:3]
	v_lshrrev_b32_e32 v0, 1, v19
	v_and_b32_e32 v1, 31, v19
	s_delay_alu instid0(VALU_DEP_2) | instskip(NEXT) | instid1(VALU_DEP_2)
	v_and_b32_e32 v0, 0x1f0, v0
	v_lshl_add_u32 v1, v1, 4, 0
	s_delay_alu instid0(VALU_DEP_2) | instskip(SKIP_4) | instid1(VALU_DEP_1)
	v_add_nc_u32_e32 v4, s52, v0
	ds_load_b128 v[0:3], v1 offset:32448
	ds_load_b128 v[4:7], v4 offset:512
	s_wait_dscnt 0x0
	v_mul_f64_e32 v[16:17], v[2:3], v[6:7]
	v_fma_f64 v[142:143], v[0:1], v[4:5], -v[16:17]
	v_mul_f64_e32 v[0:1], v[0:1], v[6:7]
	s_delay_alu instid0(VALU_DEP_1)
	v_fma_f64 v[144:145], v[2:3], v[4:5], v[0:1]
	v_lshrrev_b32_e32 v0, 1, v21
	v_lshrrev_b32_e32 v1, 6, v19
	v_lshrrev_b32_e32 v2, 6, v21
	v_and_b32_e32 v3, 31, v21
	v_add_nc_u32_e32 v19, v21, v18
	v_and_b32_e32 v0, 0x1f0, v0
	v_and_b32_e32 v1, 0x1f0, v1
	v_and_b32_e32 v2, 0x1f0, v2
	v_lshl_add_u32 v4, v3, 4, 0
	v_add_nc_u32_e32 v21, v19, v18
	v_add_nc_u32_e32 v0, s52, v0
	v_add_nc_u32_e32 v16, s52, v1
	v_add_nc_u32_e32 v17, s52, v2
	ds_load_b128 v[0:3], v0 offset:512
	ds_load_b128 v[4:7], v4 offset:32448
	ds_load_b128 v[94:97], v16 offset:1024
	ds_load_b128 v[98:101], v17 offset:1024
	v_add_nc_u32_e32 v26, v21, v18
	s_wait_dscnt 0x2
	v_mul_f64_e32 v[16:17], v[6:7], v[2:3]
	v_mul_f64_e32 v[2:3], v[4:5], v[2:3]
	s_delay_alu instid0(VALU_DEP_2) | instskip(NEXT) | instid1(VALU_DEP_2)
	v_fma_f64 v[146:147], v[4:5], v[0:1], -v[16:17]
	v_fma_f64 v[148:149], v[6:7], v[0:1], v[2:3]
	v_lshrrev_b32_e32 v0, 1, v19
	v_and_b32_e32 v1, 31, v19
	s_delay_alu instid0(VALU_DEP_2) | instskip(NEXT) | instid1(VALU_DEP_2)
	v_and_b32_e32 v0, 0x1f0, v0
	v_lshl_add_u32 v1, v1, 4, 0
	s_delay_alu instid0(VALU_DEP_2) | instskip(SKIP_4) | instid1(VALU_DEP_1)
	v_add_nc_u32_e32 v4, s52, v0
	ds_load_b128 v[0:3], v1 offset:32448
	ds_load_b128 v[4:7], v4 offset:512
	s_wait_dscnt 0x0
	v_mul_f64_e32 v[16:17], v[2:3], v[6:7]
	v_fma_f64 v[150:151], v[0:1], v[4:5], -v[16:17]
	v_mul_f64_e32 v[0:1], v[0:1], v[6:7]
	s_delay_alu instid0(VALU_DEP_1)
	v_fma_f64 v[152:153], v[2:3], v[4:5], v[0:1]
	v_lshrrev_b32_e32 v0, 1, v21
	v_lshrrev_b32_e32 v1, 6, v19
	;; [unrolled: 1-line block ×3, first 2 shown]
	v_and_b32_e32 v3, 31, v21
	v_mul_i32_i24_e32 v19, 12, v62
	v_and_b32_e32 v0, 0x1f0, v0
	v_and_b32_e32 v1, 0x1f0, v1
	;; [unrolled: 1-line block ×3, first 2 shown]
	v_lshl_add_u32 v4, v3, 4, 0
	s_delay_alu instid0(VALU_DEP_4) | instskip(NEXT) | instid1(VALU_DEP_4)
	v_add_nc_u32_e32 v0, s52, v0
	v_add_nc_u32_e32 v16, s52, v1
	s_delay_alu instid0(VALU_DEP_4)
	v_add_nc_u32_e32 v17, s52, v2
	ds_load_b128 v[0:3], v0 offset:512
	ds_load_b128 v[4:7], v4 offset:32448
	;; [unrolled: 1-line block ×4, first 2 shown]
	s_wait_dscnt 0x2
	v_mul_f64_e32 v[16:17], v[6:7], v[2:3]
	v_mul_f64_e32 v[2:3], v[4:5], v[2:3]
	s_delay_alu instid0(VALU_DEP_2) | instskip(NEXT) | instid1(VALU_DEP_2)
	v_fma_f64 v[156:157], v[4:5], v[0:1], -v[16:17]
	v_fma_f64 v[158:159], v[6:7], v[0:1], v[2:3]
	v_lshrrev_b32_e32 v0, 1, v26
	v_and_b32_e32 v1, 31, v26
	s_delay_alu instid0(VALU_DEP_2) | instskip(NEXT) | instid1(VALU_DEP_2)
	v_and_b32_e32 v0, 0x1f0, v0
	v_lshl_add_u32 v1, v1, 4, 0
	s_delay_alu instid0(VALU_DEP_2) | instskip(SKIP_4) | instid1(VALU_DEP_1)
	v_add_nc_u32_e32 v4, s52, v0
	ds_load_b128 v[0:3], v1 offset:32448
	ds_load_b128 v[4:7], v4 offset:512
	s_wait_dscnt 0x0
	v_mul_f64_e32 v[16:17], v[2:3], v[6:7]
	v_fma_f64 v[160:161], v[0:1], v[4:5], -v[16:17]
	v_mul_f64_e32 v[0:1], v[0:1], v[6:7]
	s_delay_alu instid0(VALU_DEP_1) | instskip(SKIP_1) | instid1(VALU_DEP_1)
	v_fma_f64 v[162:163], v[2:3], v[4:5], v[0:1]
	v_lshlrev_b64_e32 v[0:1], 4, v[19:20]
	v_add_co_u32 v66, vcc_lo, s22, v0
	s_wait_alu 0xfffd
	s_delay_alu instid0(VALU_DEP_2)
	v_add_co_ci_u32_e32 v67, vcc_lo, s23, v1, vcc_lo
	ds_load_b128 v[0:3], v61
	s_clause 0x1
	global_load_b128 v[4:7], v[66:67], off
	global_load_b128 v[16:19], v[66:67], off offset:16
	ds_load_b128 v[22:25], v180 offset:208
	s_wait_loadcnt_dscnt 0x100
	v_mul_f64_e32 v[20:21], v[24:25], v[6:7]
	v_mul_f64_e32 v[6:7], v[22:23], v[6:7]
	s_delay_alu instid0(VALU_DEP_2) | instskip(NEXT) | instid1(VALU_DEP_2)
	v_fma_f64 v[20:21], v[22:23], v[4:5], v[20:21]
	v_fma_f64 v[22:23], v[24:25], v[4:5], -v[6:7]
	ds_load_b128 v[4:7], v180 offset:416
	ds_load_b128 v[30:33], v180 offset:624
	s_wait_loadcnt_dscnt 0x1
	v_mul_f64_e32 v[24:25], v[6:7], v[18:19]
	s_delay_alu instid0(VALU_DEP_1) | instskip(SKIP_1) | instid1(VALU_DEP_1)
	v_fma_f64 v[24:25], v[4:5], v[16:17], v[24:25]
	v_mul_f64_e32 v[4:5], v[4:5], v[18:19]
	v_fma_f64 v[34:35], v[6:7], v[16:17], -v[4:5]
	s_clause 0x1
	global_load_b128 v[4:7], v[66:67], off offset:32
	global_load_b128 v[16:19], v[66:67], off offset:48
	s_wait_loadcnt_dscnt 0x100
	v_mul_f64_e32 v[28:29], v[32:33], v[6:7]
	v_mul_f64_e32 v[6:7], v[30:31], v[6:7]
	s_delay_alu instid0(VALU_DEP_2) | instskip(NEXT) | instid1(VALU_DEP_2)
	v_fma_f64 v[28:29], v[30:31], v[4:5], v[28:29]
	v_fma_f64 v[42:43], v[32:33], v[4:5], -v[6:7]
	ds_load_b128 v[4:7], v180 offset:832
	ds_load_b128 v[38:41], v180 offset:1040
	s_wait_loadcnt_dscnt 0x1
	v_mul_f64_e32 v[32:33], v[6:7], v[18:19]
	s_delay_alu instid0(VALU_DEP_1) | instskip(SKIP_1) | instid1(VALU_DEP_1)
	v_fma_f64 v[32:33], v[4:5], v[16:17], v[32:33]
	v_mul_f64_e32 v[4:5], v[4:5], v[18:19]
	v_fma_f64 v[164:165], v[6:7], v[16:17], -v[4:5]
	s_clause 0x1
	global_load_b128 v[4:7], v[66:67], off offset:64
	global_load_b128 v[16:19], v[66:67], off offset:80
	;; [unrolled: 17-line block ×5, first 2 shown]
	s_clause 0xa
	scratch_store_b64 off, v[164:165], off offset:80
	scratch_store_b64 off, v[36:37], off offset:88
	;; [unrolled: 1-line block ×11, first 2 shown]
	s_wait_loadcnt_dscnt 0x100
	v_mul_f64_e32 v[60:61], v[64:65], v[6:7]
	v_mul_f64_e32 v[6:7], v[62:63], v[6:7]
	s_delay_alu instid0(VALU_DEP_2) | instskip(NEXT) | instid1(VALU_DEP_2)
	v_fma_f64 v[60:61], v[62:63], v[4:5], v[60:61]
	v_fma_f64 v[62:63], v[64:65], v[4:5], -v[6:7]
	ds_load_b128 v[4:7], v180 offset:2496
	s_wait_loadcnt_dscnt 0x0
	v_mul_f64_e32 v[64:65], v[6:7], v[18:19]
	s_delay_alu instid0(VALU_DEP_1) | instskip(SKIP_1) | instid1(VALU_DEP_1)
	v_fma_f64 v[64:65], v[4:5], v[16:17], v[64:65]
	v_mul_f64_e32 v[4:5], v[4:5], v[18:19]
	v_fma_f64 v[68:69], v[6:7], v[16:17], -v[4:5]
	v_mul_f64_e32 v[4:5], v[112:113], v[72:73]
	s_delay_alu instid0(VALU_DEP_1) | instskip(SKIP_3) | instid1(VALU_DEP_2)
	v_fma_f64 v[4:5], v[70:71], v[110:111], -v[4:5]
	scratch_store_b64 off, v[4:5], off offset:8 ; 8-byte Folded Spill
	v_mul_f64_e32 v[4:5], v[110:111], v[72:73]
	v_add_f64_e32 v[110:111], v[22:23], v[68:69]
	v_fma_f64 v[4:5], v[70:71], v[112:113], v[4:5]
	v_add_f64_e64 v[112:113], v[34:35], -v[62:63]
	s_delay_alu instid0(VALU_DEP_3)
	v_mul_f64_e32 v[201:202], s[16:17], v[110:111]
	v_mul_f64_e32 v[225:226], s[10:11], v[110:111]
	;; [unrolled: 1-line block ×3, first 2 shown]
	scratch_store_b64 off, v[4:5], off offset:16 ; 8-byte Folded Spill
	v_mul_f64_e32 v[4:5], v[116:117], v[76:77]
	v_mul_f64_e32 v[199:200], s[26:27], v[112:113]
	;; [unrolled: 1-line block ×4, first 2 shown]
	s_delay_alu instid0(VALU_DEP_4) | instskip(SKIP_2) | instid1(VALU_DEP_2)
	v_fma_f64 v[66:67], v[74:75], v[114:115], -v[4:5]
	v_mul_f64_e32 v[4:5], v[114:115], v[76:77]
	v_add_f64_e32 v[114:115], v[34:35], v[62:63]
	v_fma_f64 v[74:75], v[74:75], v[116:117], v[4:5]
	v_mul_f64_e32 v[4:5], v[120:121], v[10:11]
	v_add_f64_e64 v[116:117], v[42:43], -v[58:59]
	s_delay_alu instid0(VALU_DEP_4)
	v_mul_f64_e32 v[203:204], s[6:7], v[114:115]
	v_mul_f64_e32 v[227:228], s[8:9], v[114:115]
	;; [unrolled: 1-line block ×3, first 2 shown]
	v_fma_f64 v[16:17], v[8:9], v[118:119], -v[4:5]
	v_mul_f64_e32 v[4:5], v[118:119], v[10:11]
	v_add_f64_e32 v[118:119], v[42:43], v[58:59]
	s_delay_alu instid0(VALU_DEP_2) | instskip(SKIP_2) | instid1(VALU_DEP_2)
	v_fma_f64 v[8:9], v[8:9], v[120:121], v[4:5]
	v_mul_f64_e32 v[4:5], v[124:125], v[14:15]
	v_add_f64_e64 v[120:121], v[164:165], -v[54:55]
	v_fma_f64 v[10:11], v[12:13], v[122:123], -v[4:5]
	v_mul_f64_e32 v[4:5], v[122:123], v[14:15]
	v_add_f64_e32 v[122:123], v[164:165], v[54:55]
	s_delay_alu instid0(VALU_DEP_2) | instskip(SKIP_1) | instid1(VALU_DEP_1)
	v_fma_f64 v[12:13], v[12:13], v[124:125], v[4:5]
	v_mul_f64_e32 v[4:5], v[128:129], v[80:81]
	v_fma_f64 v[14:15], v[78:79], v[126:127], -v[4:5]
	v_mul_f64_e32 v[4:5], v[126:127], v[80:81]
	v_add_f64_e64 v[126:127], v[38:39], -v[50:51]
	s_delay_alu instid0(VALU_DEP_2) | instskip(SKIP_3) | instid1(VALU_DEP_3)
	v_fma_f64 v[18:19], v[78:79], v[128:129], v[4:5]
	v_mul_f64_e32 v[4:5], v[132:133], v[84:85]
	v_add_f64_e32 v[78:79], v[20:21], v[64:65]
	v_add_f64_e32 v[128:129], v[38:39], v[50:51]
	v_fma_f64 v[181:182], v[82:83], v[130:131], -v[4:5]
	v_mul_f64_e32 v[4:5], v[130:131], v[84:85]
	v_add_f64_e64 v[84:85], v[20:21], -v[64:65]
	v_mul_f64_e32 v[20:21], s[30:31], v[126:127]
	s_delay_alu instid0(VALU_DEP_3) | instskip(SKIP_3) | instid1(VALU_DEP_3)
	v_fma_f64 v[183:184], v[82:83], v[132:133], v[4:5]
	v_mul_f64_e32 v[4:5], v[136:137], v[88:89]
	v_add_f64_e32 v[82:83], v[24:25], v[60:61]
	v_add_f64_e32 v[132:133], v[40:41], v[46:47]
	v_fma_f64 v[185:186], v[86:87], v[134:135], -v[4:5]
	v_mul_f64_e32 v[4:5], v[134:135], v[88:89]
	v_add_f64_e64 v[134:135], v[40:41], -v[46:47]
	s_delay_alu instid0(VALU_DEP_2) | instskip(SKIP_3) | instid1(VALU_DEP_3)
	v_fma_f64 v[187:188], v[86:87], v[136:137], v[4:5]
	v_mul_f64_e32 v[4:5], v[140:141], v[92:93]
	v_add_f64_e64 v[86:87], v[24:25], -v[60:61]
	v_mul_f64_e32 v[24:25], s[16:17], v[132:133]
	v_fma_f64 v[189:190], v[90:91], v[138:139], -v[4:5]
	v_mul_f64_e32 v[4:5], v[138:139], v[92:93]
	v_mul_f64_e32 v[138:139], s[30:31], v[112:113]
	v_fma_f64 v[205:206], v[86:87], s[34:35], v[203:204]
	v_fma_f64 v[229:230], v[86:87], s[28:29], v[227:228]
	;; [unrolled: 1-line block ×4, first 2 shown]
	v_mul_f64_e32 v[4:5], v[144:145], v[96:97]
	v_mul_f64_e32 v[140:141], s[24:25], v[110:111]
	s_delay_alu instid0(VALU_DEP_2) | instskip(SKIP_1) | instid1(VALU_DEP_1)
	v_fma_f64 v[193:194], v[94:95], v[142:143], -v[4:5]
	v_mul_f64_e32 v[4:5], v[142:143], v[96:97]
	v_fma_f64 v[195:196], v[94:95], v[144:145], v[4:5]
	v_mul_f64_e32 v[4:5], v[148:149], v[100:101]
	v_mul_f64_e32 v[144:145], s[10:11], v[114:115]
	s_delay_alu instid0(VALU_DEP_2) | instskip(SKIP_1) | instid1(VALU_DEP_3)
	v_fma_f64 v[142:143], v[98:99], v[146:147], -v[4:5]
	v_mul_f64_e32 v[4:5], v[146:147], v[100:101]
	v_fma_f64 v[88:89], v[86:87], s[40:41], v[144:145]
	v_mul_f64_e32 v[146:147], s[26:27], v[116:117]
	s_delay_alu instid0(VALU_DEP_3) | instskip(SKIP_2) | instid1(VALU_DEP_2)
	v_fma_f64 v[154:155], v[98:99], v[148:149], v[4:5]
	v_mul_f64_e32 v[4:5], v[152:153], v[104:105]
	v_mul_f64_e32 v[148:149], s[6:7], v[118:119]
	v_fma_f64 v[124:125], v[102:103], v[150:151], -v[4:5]
	v_mul_f64_e32 v[4:5], v[150:151], v[104:105]
	v_mul_f64_e32 v[150:151], s[36:37], v[120:121]
	s_delay_alu instid0(VALU_DEP_2) | instskip(SKIP_2) | instid1(VALU_DEP_2)
	v_fma_f64 v[130:131], v[102:103], v[152:153], v[4:5]
	v_mul_f64_e32 v[4:5], v[158:159], v[108:109]
	v_mul_f64_e32 v[152:153], s[8:9], v[122:123]
	v_fma_f64 v[98:99], v[106:107], v[156:157], -v[4:5]
	v_mul_f64_e32 v[4:5], v[156:157], v[108:109]
	v_add_f64_e64 v[108:109], v[22:23], -v[68:69]
	v_mul_f64_e32 v[156:157], s[46:47], v[126:127]
	v_mul_f64_e32 v[22:23], s[24:25], v[122:123]
	s_delay_alu instid0(VALU_DEP_4) | instskip(SKIP_4) | instid1(VALU_DEP_4)
	v_fma_f64 v[104:105], v[106:107], v[158:159], v[4:5]
	v_lshrrev_b32_e32 v4, 6, v26
	v_mul_f64_e32 v[136:137], s[42:43], v[108:109]
	v_mul_f64_e32 v[158:159], s[16:17], v[128:129]
	;; [unrolled: 1-line block ×3, first 2 shown]
	v_and_b32_e32 v4, 0x1f0, v4
	s_delay_alu instid0(VALU_DEP_1) | instskip(SKIP_4) | instid1(VALU_DEP_2)
	v_add_nc_u32_e32 v4, s52, v4
	ds_load_b128 v[4:7], v4 offset:1024
	s_wait_dscnt 0x0
	v_mul_f64_e32 v[76:77], v[162:163], v[6:7]
	v_mul_f64_e32 v[6:7], v[160:161], v[6:7]
	v_fma_f64 v[76:77], v[4:5], v[160:161], -v[76:77]
	s_delay_alu instid0(VALU_DEP_2) | instskip(SKIP_4) | instid1(VALU_DEP_4)
	v_fma_f64 v[80:81], v[4:5], v[162:163], v[6:7]
	v_fma_f64 v[4:5], v[78:79], s[24:25], v[136:137]
	;; [unrolled: 1-line block ×3, first 2 shown]
	v_mul_f64_e32 v[160:161], s[18:19], v[132:133]
	v_mul_f64_e32 v[162:163], s[50:51], v[134:135]
	v_add_f64_e32 v[4:5], v[0:1], v[4:5]
	s_delay_alu instid0(VALU_DEP_1) | instskip(SKIP_1) | instid1(VALU_DEP_1)
	v_add_f64_e32 v[4:5], v[6:7], v[4:5]
	v_fma_f64 v[6:7], v[84:85], s[48:49], v[140:141]
	v_add_f64_e32 v[6:7], v[2:3], v[6:7]
	s_delay_alu instid0(VALU_DEP_1) | instskip(SKIP_1) | instid1(VALU_DEP_1)
	v_add_f64_e32 v[6:7], v[88:89], v[6:7]
	v_add_f64_e32 v[88:89], v[28:29], v[56:57]
	v_fma_f64 v[90:91], v[88:89], s[6:7], v[146:147]
	s_delay_alu instid0(VALU_DEP_1) | instskip(SKIP_2) | instid1(VALU_DEP_2)
	v_add_f64_e32 v[4:5], v[90:91], v[4:5]
	v_add_f64_e64 v[90:91], v[28:29], -v[56:57]
	v_mul_f64_e32 v[28:29], s[46:47], v[134:135]
	v_fma_f64 v[92:93], v[90:91], s[34:35], v[148:149]
	s_delay_alu instid0(VALU_DEP_1) | instskip(SKIP_1) | instid1(VALU_DEP_1)
	v_add_f64_e32 v[6:7], v[92:93], v[6:7]
	v_add_f64_e32 v[92:93], v[32:33], v[52:53]
	v_fma_f64 v[94:95], v[92:93], s[8:9], v[150:151]
	s_delay_alu instid0(VALU_DEP_1) | instskip(SKIP_1) | instid1(VALU_DEP_1)
	v_add_f64_e32 v[4:5], v[94:95], v[4:5]
	v_add_f64_e64 v[94:95], v[32:33], -v[52:53]
	v_fma_f64 v[96:97], v[94:95], s[28:29], v[152:153]
	s_delay_alu instid0(VALU_DEP_1) | instskip(SKIP_1) | instid1(VALU_DEP_1)
	v_add_f64_e32 v[6:7], v[96:97], v[6:7]
	v_add_f64_e32 v[96:97], v[36:37], v[48:49]
	v_fma_f64 v[100:101], v[96:97], s[16:17], v[156:157]
	s_delay_alu instid0(VALU_DEP_1) | instskip(SKIP_1) | instid1(VALU_DEP_1)
	v_add_f64_e32 v[4:5], v[100:101], v[4:5]
	v_add_f64_e64 v[100:101], v[36:37], -v[48:49]
	v_fma_f64 v[102:103], v[100:101], s[38:39], v[158:159]
	s_delay_alu instid0(VALU_DEP_1) | instskip(SKIP_1) | instid1(VALU_DEP_1)
	v_add_f64_e32 v[6:7], v[102:103], v[6:7]
	v_add_f64_e64 v[102:103], v[30:31], -v[44:45]
	v_fma_f64 v[106:107], v[102:103], s[44:45], v[160:161]
	s_delay_alu instid0(VALU_DEP_1) | instskip(SKIP_1) | instid1(VALU_DEP_1)
	v_add_f64_e32 v[6:7], v[106:107], v[6:7]
	v_add_f64_e32 v[106:107], v[30:31], v[44:45]
	v_fma_f64 v[197:198], v[106:107], s[18:19], v[162:163]
	s_delay_alu instid0(VALU_DEP_1) | instskip(NEXT) | instid1(VALU_DEP_4)
	v_add_f64_e32 v[4:5], v[197:198], v[4:5]
	v_mul_f64_e32 v[197:198], v[6:7], v[8:9]
	s_delay_alu instid0(VALU_DEP_2) | instskip(NEXT) | instid1(VALU_DEP_2)
	v_mul_f64_e32 v[8:9], v[4:5], v[8:9]
	v_fma_f64 v[32:33], v[4:5], v[16:17], v[197:198]
	v_mul_f64_e32 v[197:198], s[38:39], v[108:109]
	v_mul_f64_e32 v[4:5], s[50:51], v[112:113]
	s_delay_alu instid0(VALU_DEP_4) | instskip(SKIP_1) | instid1(VALU_DEP_4)
	v_fma_f64 v[34:35], v[6:7], v[16:17], -v[8:9]
	v_fma_f64 v[16:17], v[82:83], s[6:7], v[199:200]
	v_fma_f64 v[8:9], v[78:79], s[16:17], v[197:198]
	s_delay_alu instid0(VALU_DEP_4) | instskip(SKIP_1) | instid1(VALU_DEP_3)
	v_fma_f64 v[6:7], v[82:83], s[18:19], v[4:5]
	v_fma_f64 v[4:5], v[82:83], s[18:19], -v[4:5]
	v_add_f64_e32 v[8:9], v[0:1], v[8:9]
	s_delay_alu instid0(VALU_DEP_1) | instskip(SKIP_1) | instid1(VALU_DEP_1)
	v_add_f64_e32 v[8:9], v[16:17], v[8:9]
	v_fma_f64 v[16:17], v[84:85], s[46:47], v[201:202]
	v_add_f64_e32 v[16:17], v[2:3], v[16:17]
	s_delay_alu instid0(VALU_DEP_1) | instskip(SKIP_1) | instid1(VALU_DEP_1)
	v_add_f64_e32 v[16:17], v[205:206], v[16:17]
	v_mul_f64_e32 v[205:206], s[40:41], v[116:117]
	v_fma_f64 v[207:208], v[88:89], s[10:11], v[205:206]
	s_delay_alu instid0(VALU_DEP_1) | instskip(SKIP_1) | instid1(VALU_DEP_1)
	v_add_f64_e32 v[8:9], v[207:208], v[8:9]
	v_mul_f64_e32 v[207:208], s[10:11], v[118:119]
	v_fma_f64 v[209:210], v[90:91], s[30:31], v[207:208]
	;; [unrolled: 4-line block ×8, first 2 shown]
	s_delay_alu instid0(VALU_DEP_1) | instskip(NEXT) | instid1(VALU_DEP_4)
	v_add_f64_e32 v[8:9], v[221:222], v[8:9]
	v_mul_f64_e32 v[221:222], v[16:17], v[12:13]
	s_delay_alu instid0(VALU_DEP_2) | instskip(NEXT) | instid1(VALU_DEP_2)
	v_mul_f64_e32 v[12:13], v[8:9], v[12:13]
	v_fma_f64 v[40:41], v[8:9], v[10:11], v[221:222]
	v_mul_f64_e32 v[221:222], s[30:31], v[108:109]
	v_mul_f64_e32 v[8:9], s[18:19], v[114:115]
	s_delay_alu instid0(VALU_DEP_4) | instskip(SKIP_1) | instid1(VALU_DEP_4)
	v_fma_f64 v[42:43], v[16:17], v[10:11], -v[12:13]
	v_fma_f64 v[16:17], v[82:83], s[8:9], v[223:224]
	v_fma_f64 v[12:13], v[78:79], s[10:11], v[221:222]
	s_delay_alu instid0(VALU_DEP_1) | instskip(NEXT) | instid1(VALU_DEP_1)
	v_add_f64_e32 v[12:13], v[0:1], v[12:13]
	v_add_f64_e32 v[12:13], v[16:17], v[12:13]
	v_fma_f64 v[16:17], v[84:85], s[40:41], v[225:226]
	s_delay_alu instid0(VALU_DEP_1) | instskip(NEXT) | instid1(VALU_DEP_1)
	v_add_f64_e32 v[16:17], v[2:3], v[16:17]
	v_add_f64_e32 v[16:17], v[229:230], v[16:17]
	v_mul_f64_e32 v[229:230], s[50:51], v[116:117]
	s_delay_alu instid0(VALU_DEP_1) | instskip(NEXT) | instid1(VALU_DEP_1)
	v_fma_f64 v[231:232], v[88:89], s[18:19], v[229:230]
	v_add_f64_e32 v[12:13], v[231:232], v[12:13]
	v_mul_f64_e32 v[231:232], s[18:19], v[118:119]
	s_delay_alu instid0(VALU_DEP_1) | instskip(NEXT) | instid1(VALU_DEP_1)
	v_fma_f64 v[233:234], v[90:91], s[44:45], v[231:232]
	;; [unrolled: 4-line block ×8, first 2 shown]
	v_add_f64_e32 v[12:13], v[245:246], v[12:13]
	s_delay_alu instid0(VALU_DEP_4) | instskip(NEXT) | instid1(VALU_DEP_2)
	v_mul_f64_e32 v[245:246], v[16:17], v[18:19]
	v_mul_f64_e32 v[18:19], v[12:13], v[18:19]
	s_delay_alu instid0(VALU_DEP_2) | instskip(SKIP_2) | instid1(VALU_DEP_4)
	v_fma_f64 v[36:37], v[12:13], v[14:15], v[245:246]
	v_mul_f64_e32 v[245:246], s[28:29], v[108:109]
	v_mul_f64_e32 v[12:13], s[6:7], v[110:111]
	v_fma_f64 v[38:39], v[16:17], v[14:15], -v[18:19]
	v_fma_f64 v[18:19], v[82:83], s[16:17], v[247:248]
	s_delay_alu instid0(VALU_DEP_4) | instskip(NEXT) | instid1(VALU_DEP_4)
	v_fma_f64 v[16:17], v[78:79], s[8:9], v[245:246]
	v_fma_f64 v[10:11], v[84:85], s[34:35], v[12:13]
	;; [unrolled: 1-line block ×4, first 2 shown]
	s_delay_alu instid0(VALU_DEP_4) | instskip(NEXT) | instid1(VALU_DEP_4)
	v_add_f64_e32 v[16:17], v[0:1], v[16:17]
	v_add_f64_e32 v[10:11], v[2:3], v[10:11]
	s_delay_alu instid0(VALU_DEP_2) | instskip(SKIP_1) | instid1(VALU_DEP_3)
	v_add_f64_e32 v[16:17], v[18:19], v[16:17]
	v_fma_f64 v[18:19], v[84:85], s[36:37], v[249:250]
	v_add_f64_e32 v[10:11], v[14:15], v[10:11]
	v_mul_f64_e32 v[14:15], s[28:29], v[116:117]
	s_delay_alu instid0(VALU_DEP_3) | instskip(NEXT) | instid1(VALU_DEP_1)
	v_add_f64_e32 v[18:19], v[2:3], v[18:19]
	v_add_f64_e32 v[18:19], v[253:254], v[18:19]
	v_mul_f64_e32 v[253:254], s[42:43], v[116:117]
	s_delay_alu instid0(VALU_DEP_1) | instskip(NEXT) | instid1(VALU_DEP_1)
	v_fma_f64 v[178:179], v[88:89], s[24:25], v[253:254]
	v_add_f64_e32 v[16:17], v[178:179], v[16:17]
	v_mul_f64_e32 v[178:179], s[24:25], v[118:119]
	s_delay_alu instid0(VALU_DEP_1) | instskip(NEXT) | instid1(VALU_DEP_1)
	v_fma_f64 v[164:165], v[90:91], s[48:49], v[178:179]
	;; [unrolled: 4-line block ×8, first 2 shown]
	v_add_f64_e32 v[16:17], v[176:177], v[16:17]
	s_delay_alu instid0(VALU_DEP_4) | instskip(NEXT) | instid1(VALU_DEP_2)
	v_mul_f64_e32 v[176:177], v[18:19], v[183:184]
	v_mul_f64_e32 v[183:184], v[16:17], v[183:184]
	s_delay_alu instid0(VALU_DEP_2) | instskip(SKIP_2) | instid1(VALU_DEP_4)
	v_fma_f64 v[70:71], v[16:17], v[181:182], v[176:177]
	v_mul_f64_e32 v[176:177], s[26:27], v[108:109]
	v_mul_f64_e32 v[16:17], s[8:9], v[118:119]
	v_fma_f64 v[72:73], v[18:19], v[181:182], -v[183:184]
	s_delay_alu instid0(VALU_DEP_3) | instskip(NEXT) | instid1(VALU_DEP_3)
	v_fma_f64 v[181:182], v[78:79], s[6:7], v[176:177]
	v_fma_f64 v[18:19], v[90:91], s[36:37], v[16:17]
	s_delay_alu instid0(VALU_DEP_2) | instskip(NEXT) | instid1(VALU_DEP_2)
	v_add_f64_e32 v[181:182], v[0:1], v[181:182]
	v_add_f64_e32 v[10:11], v[18:19], v[10:11]
	v_mul_f64_e32 v[18:19], s[48:49], v[120:121]
	s_delay_alu instid0(VALU_DEP_3) | instskip(SKIP_1) | instid1(VALU_DEP_1)
	v_add_f64_e32 v[6:7], v[6:7], v[181:182]
	v_fma_f64 v[181:182], v[88:89], s[8:9], v[14:15]
	v_add_f64_e32 v[6:7], v[181:182], v[6:7]
	s_delay_alu instid0(VALU_DEP_4) | instskip(NEXT) | instid1(VALU_DEP_1)
	v_fma_f64 v[181:182], v[92:93], s[24:25], v[18:19]
	v_add_f64_e32 v[6:7], v[181:182], v[6:7]
	v_fma_f64 v[181:182], v[94:95], s[42:43], v[22:23]
	s_delay_alu instid0(VALU_DEP_1) | instskip(SKIP_1) | instid1(VALU_DEP_1)
	v_add_f64_e32 v[10:11], v[181:182], v[10:11]
	v_fma_f64 v[181:182], v[96:97], s[10:11], v[20:21]
	v_add_f64_e32 v[6:7], v[181:182], v[6:7]
	v_fma_f64 v[181:182], v[100:101], s[40:41], v[26:27]
	s_delay_alu instid0(VALU_DEP_1) | instskip(SKIP_1) | instid1(VALU_DEP_1)
	v_add_f64_e32 v[10:11], v[181:182], v[10:11]
	v_fma_f64 v[181:182], v[102:103], s[38:39], v[24:25]
	v_add_f64_e32 v[10:11], v[181:182], v[10:11]
	v_fma_f64 v[181:182], v[106:107], s[16:17], v[28:29]
	s_delay_alu instid0(VALU_DEP_1) | instskip(NEXT) | instid1(VALU_DEP_3)
	v_add_f64_e32 v[6:7], v[181:182], v[6:7]
	v_mul_f64_e32 v[181:182], v[10:11], v[187:188]
	s_delay_alu instid0(VALU_DEP_2) | instskip(NEXT) | instid1(VALU_DEP_2)
	v_mul_f64_e32 v[183:184], v[6:7], v[187:188]
	v_fma_f64 v[181:182], v[6:7], v[185:186], v[181:182]
	v_fma_f64 v[6:7], v[78:79], s[6:7], -v[176:177]
	s_delay_alu instid0(VALU_DEP_3) | instskip(NEXT) | instid1(VALU_DEP_2)
	v_fma_f64 v[183:184], v[10:11], v[185:186], -v[183:184]
	v_add_f64_e32 v[6:7], v[0:1], v[6:7]
	s_delay_alu instid0(VALU_DEP_1) | instskip(SKIP_2) | instid1(VALU_DEP_2)
	v_add_f64_e32 v[4:5], v[4:5], v[6:7]
	v_fma_f64 v[6:7], v[84:85], s[26:27], v[12:13]
	v_mul_f64_e32 v[12:13], s[24:25], v[114:115]
	v_add_f64_e32 v[6:7], v[2:3], v[6:7]
	s_delay_alu instid0(VALU_DEP_1) | instskip(SKIP_1) | instid1(VALU_DEP_1)
	v_add_f64_e32 v[6:7], v[8:9], v[6:7]
	v_fma_f64 v[8:9], v[88:89], s[8:9], -v[14:15]
	v_add_f64_e32 v[4:5], v[8:9], v[4:5]
	v_fma_f64 v[8:9], v[90:91], s[28:29], v[16:17]
	v_fma_f64 v[16:17], v[86:87], s[42:43], v[12:13]
	s_delay_alu instid0(VALU_DEP_2) | instskip(SKIP_1) | instid1(VALU_DEP_1)
	v_add_f64_e32 v[6:7], v[8:9], v[6:7]
	v_fma_f64 v[8:9], v[92:93], s[24:25], -v[18:19]
	v_add_f64_e32 v[4:5], v[8:9], v[4:5]
	v_fma_f64 v[8:9], v[94:95], s[48:49], v[22:23]
	s_delay_alu instid0(VALU_DEP_1) | instskip(SKIP_1) | instid1(VALU_DEP_1)
	v_add_f64_e32 v[6:7], v[8:9], v[6:7]
	v_fma_f64 v[8:9], v[96:97], s[10:11], -v[20:21]
	v_add_f64_e32 v[4:5], v[8:9], v[4:5]
	v_fma_f64 v[8:9], v[100:101], s[30:31], v[26:27]
	s_delay_alu instid0(VALU_DEP_1) | instskip(SKIP_1) | instid1(VALU_DEP_1)
	v_add_f64_e32 v[6:7], v[8:9], v[6:7]
	v_fma_f64 v[8:9], v[102:103], s[46:47], v[24:25]
	v_add_f64_e32 v[6:7], v[8:9], v[6:7]
	v_fma_f64 v[8:9], v[106:107], s[16:17], -v[28:29]
	s_delay_alu instid0(VALU_DEP_1) | instskip(NEXT) | instid1(VALU_DEP_3)
	v_add_f64_e32 v[4:5], v[8:9], v[4:5]
	v_mul_f64_e32 v[8:9], v[6:7], v[191:192]
	s_delay_alu instid0(VALU_DEP_2) | instskip(NEXT) | instid1(VALU_DEP_2)
	v_mul_f64_e32 v[10:11], v[4:5], v[191:192]
	v_fma_f64 v[185:186], v[4:5], v[189:190], v[8:9]
	v_fma_f64 v[4:5], v[78:79], s[8:9], -v[245:246]
	v_fma_f64 v[8:9], v[86:87], s[46:47], v[251:252]
	s_delay_alu instid0(VALU_DEP_4) | instskip(SKIP_1) | instid1(VALU_DEP_4)
	v_fma_f64 v[187:188], v[6:7], v[189:190], -v[10:11]
	v_fma_f64 v[6:7], v[82:83], s[16:17], -v[247:248]
	v_add_f64_e32 v[4:5], v[0:1], v[4:5]
	s_delay_alu instid0(VALU_DEP_1) | instskip(SKIP_1) | instid1(VALU_DEP_1)
	v_add_f64_e32 v[4:5], v[6:7], v[4:5]
	v_fma_f64 v[6:7], v[84:85], s[28:29], v[249:250]
	v_add_f64_e32 v[6:7], v[2:3], v[6:7]
	s_delay_alu instid0(VALU_DEP_1) | instskip(SKIP_1) | instid1(VALU_DEP_1)
	v_add_f64_e32 v[6:7], v[8:9], v[6:7]
	v_fma_f64 v[8:9], v[88:89], s[24:25], -v[253:254]
	v_add_f64_e32 v[4:5], v[8:9], v[4:5]
	v_fma_f64 v[8:9], v[90:91], s[42:43], v[178:179]
	s_delay_alu instid0(VALU_DEP_1) | instskip(SKIP_1) | instid1(VALU_DEP_1)
	v_add_f64_e32 v[6:7], v[8:9], v[6:7]
	v_fma_f64 v[8:9], v[92:93], s[6:7], -v[164:165]
	v_add_f64_e32 v[4:5], v[8:9], v[4:5]
	v_fma_f64 v[8:9], v[94:95], s[34:35], v[166:167]
	s_delay_alu instid0(VALU_DEP_1) | instskip(SKIP_1) | instid1(VALU_DEP_1)
	v_add_f64_e32 v[6:7], v[8:9], v[6:7]
	v_fma_f64 v[8:9], v[96:97], s[18:19], -v[168:169]
	v_add_f64_e32 v[4:5], v[8:9], v[4:5]
	v_fma_f64 v[8:9], v[100:101], s[50:51], v[170:171]
	s_delay_alu instid0(VALU_DEP_1) | instskip(SKIP_1) | instid1(VALU_DEP_1)
	v_add_f64_e32 v[6:7], v[8:9], v[6:7]
	v_fma_f64 v[8:9], v[102:103], s[30:31], v[172:173]
	v_add_f64_e32 v[6:7], v[8:9], v[6:7]
	v_fma_f64 v[8:9], v[106:107], s[10:11], -v[174:175]
	s_delay_alu instid0(VALU_DEP_1) | instskip(NEXT) | instid1(VALU_DEP_3)
	v_add_f64_e32 v[4:5], v[8:9], v[4:5]
	v_mul_f64_e32 v[8:9], v[6:7], v[195:196]
	s_delay_alu instid0(VALU_DEP_2) | instskip(NEXT) | instid1(VALU_DEP_2)
	v_mul_f64_e32 v[10:11], v[4:5], v[195:196]
	v_fma_f64 v[189:190], v[4:5], v[193:194], v[8:9]
	v_fma_f64 v[4:5], v[78:79], s[10:11], -v[221:222]
	v_fma_f64 v[8:9], v[86:87], s[36:37], v[227:228]
	s_delay_alu instid0(VALU_DEP_4) | instskip(SKIP_1) | instid1(VALU_DEP_4)
	v_fma_f64 v[191:192], v[6:7], v[193:194], -v[10:11]
	v_fma_f64 v[6:7], v[82:83], s[8:9], -v[223:224]
	v_add_f64_e32 v[4:5], v[0:1], v[4:5]
	s_delay_alu instid0(VALU_DEP_1) | instskip(SKIP_1) | instid1(VALU_DEP_1)
	v_add_f64_e32 v[4:5], v[6:7], v[4:5]
	v_fma_f64 v[6:7], v[84:85], s[30:31], v[225:226]
	v_add_f64_e32 v[6:7], v[2:3], v[6:7]
	s_delay_alu instid0(VALU_DEP_1) | instskip(SKIP_1) | instid1(VALU_DEP_1)
	v_add_f64_e32 v[6:7], v[8:9], v[6:7]
	v_fma_f64 v[8:9], v[88:89], s[18:19], -v[229:230]
	v_add_f64_e32 v[4:5], v[8:9], v[4:5]
	v_fma_f64 v[8:9], v[90:91], s[50:51], v[231:232]
	s_delay_alu instid0(VALU_DEP_1) | instskip(SKIP_1) | instid1(VALU_DEP_1)
	;; [unrolled: 36-line block ×4, first 2 shown]
	v_add_f64_e32 v[6:7], v[8:9], v[6:7]
	v_fma_f64 v[8:9], v[92:93], s[8:9], -v[150:151]
	v_add_f64_e32 v[4:5], v[8:9], v[4:5]
	v_fma_f64 v[8:9], v[94:95], s[36:37], v[152:153]
	s_delay_alu instid0(VALU_DEP_1) | instskip(SKIP_1) | instid1(VALU_DEP_1)
	v_add_f64_e32 v[6:7], v[8:9], v[6:7]
	v_fma_f64 v[8:9], v[96:97], s[16:17], -v[156:157]
	v_add_f64_e32 v[4:5], v[8:9], v[4:5]
	v_fma_f64 v[8:9], v[100:101], s[46:47], v[158:159]
	s_delay_alu instid0(VALU_DEP_1) | instskip(SKIP_1) | instid1(VALU_DEP_1)
	v_add_f64_e32 v[6:7], v[8:9], v[6:7]
	v_fma_f64 v[8:9], v[102:103], s[50:51], v[160:161]
	v_add_f64_e32 v[6:7], v[8:9], v[6:7]
	v_fma_f64 v[8:9], v[106:107], s[18:19], -v[162:163]
	s_delay_alu instid0(VALU_DEP_1) | instskip(NEXT) | instid1(VALU_DEP_3)
	v_add_f64_e32 v[4:5], v[8:9], v[4:5]
	v_mul_f64_e32 v[8:9], v[6:7], v[104:105]
	s_delay_alu instid0(VALU_DEP_2) | instskip(NEXT) | instid1(VALU_DEP_2)
	v_mul_f64_e32 v[10:11], v[4:5], v[104:105]
	v_fma_f64 v[136:137], v[4:5], v[98:99], v[8:9]
	v_mul_f64_e32 v[4:5], s[44:45], v[108:109]
	s_delay_alu instid0(VALU_DEP_3) | instskip(SKIP_1) | instid1(VALU_DEP_3)
	v_fma_f64 v[138:139], v[6:7], v[98:99], -v[10:11]
	v_mul_f64_e32 v[6:7], s[42:43], v[112:113]
	v_fma_f64 v[8:9], v[78:79], s[18:19], -v[4:5]
	v_fma_f64 v[4:5], v[78:79], s[18:19], v[4:5]
	s_delay_alu instid0(VALU_DEP_3) | instskip(NEXT) | instid1(VALU_DEP_3)
	v_fma_f64 v[10:11], v[82:83], s[24:25], -v[6:7]
	v_add_f64_e32 v[8:9], v[0:1], v[8:9]
	v_fma_f64 v[6:7], v[82:83], s[24:25], v[6:7]
	s_delay_alu instid0(VALU_DEP_4) | instskip(NEXT) | instid1(VALU_DEP_3)
	v_add_f64_e32 v[4:5], v[0:1], v[4:5]
	v_add_f64_e32 v[8:9], v[10:11], v[8:9]
	v_mul_f64_e32 v[10:11], s[18:19], v[110:111]
	s_delay_alu instid0(VALU_DEP_3) | instskip(NEXT) | instid1(VALU_DEP_2)
	v_add_f64_e32 v[4:5], v[6:7], v[4:5]
	v_fma_f64 v[14:15], v[84:85], s[44:45], v[10:11]
	s_delay_alu instid0(VALU_DEP_1) | instskip(NEXT) | instid1(VALU_DEP_1)
	v_add_f64_e32 v[14:15], v[2:3], v[14:15]
	v_add_f64_e32 v[14:15], v[16:17], v[14:15]
	v_mul_f64_e32 v[16:17], s[38:39], v[116:117]
	s_delay_alu instid0(VALU_DEP_1) | instskip(NEXT) | instid1(VALU_DEP_1)
	v_fma_f64 v[18:19], v[88:89], s[16:17], -v[16:17]
	v_add_f64_e32 v[8:9], v[18:19], v[8:9]
	v_mul_f64_e32 v[18:19], s[16:17], v[118:119]
	s_delay_alu instid0(VALU_DEP_1) | instskip(NEXT) | instid1(VALU_DEP_1)
	v_fma_f64 v[20:21], v[90:91], s[38:39], v[18:19]
	v_add_f64_e32 v[14:15], v[20:21], v[14:15]
	v_mul_f64_e32 v[20:21], s[30:31], v[120:121]
	s_delay_alu instid0(VALU_DEP_1) | instskip(SKIP_1) | instid1(VALU_DEP_2)
	v_fma_f64 v[22:23], v[92:93], s[10:11], -v[20:21]
	v_fma_f64 v[6:7], v[92:93], s[10:11], v[20:21]
	v_add_f64_e32 v[8:9], v[22:23], v[8:9]
	v_mul_f64_e32 v[22:23], s[10:11], v[122:123]
	s_delay_alu instid0(VALU_DEP_1) | instskip(NEXT) | instid1(VALU_DEP_1)
	v_fma_f64 v[24:25], v[94:95], s[30:31], v[22:23]
	v_add_f64_e32 v[14:15], v[24:25], v[14:15]
	v_mul_f64_e32 v[24:25], s[28:29], v[126:127]
	s_delay_alu instid0(VALU_DEP_1) | instskip(NEXT) | instid1(VALU_DEP_1)
	v_fma_f64 v[26:27], v[96:97], s[8:9], -v[24:25]
	v_add_f64_e32 v[8:9], v[26:27], v[8:9]
	v_mul_f64_e32 v[26:27], s[8:9], v[128:129]
	s_delay_alu instid0(VALU_DEP_1) | instskip(NEXT) | instid1(VALU_DEP_1)
	v_fma_f64 v[28:29], v[100:101], s[28:29], v[26:27]
	v_add_f64_e32 v[14:15], v[28:29], v[14:15]
	v_mul_f64_e32 v[28:29], s[6:7], v[132:133]
	s_delay_alu instid0(VALU_DEP_1) | instskip(NEXT) | instid1(VALU_DEP_1)
	v_fma_f64 v[98:99], v[102:103], s[26:27], v[28:29]
	v_add_f64_e32 v[14:15], v[98:99], v[14:15]
	v_mul_f64_e32 v[98:99], s[26:27], v[134:135]
	s_delay_alu instid0(VALU_DEP_1) | instskip(NEXT) | instid1(VALU_DEP_1)
	v_fma_f64 v[104:105], v[106:107], s[6:7], -v[98:99]
	v_add_f64_e32 v[8:9], v[104:105], v[8:9]
	s_delay_alu instid0(VALU_DEP_4) | instskip(NEXT) | instid1(VALU_DEP_2)
	v_mul_f64_e32 v[104:105], v[14:15], v[80:81]
	v_mul_f64_e32 v[80:81], v[8:9], v[80:81]
	s_delay_alu instid0(VALU_DEP_2)
	v_fma_f64 v[108:109], v[8:9], v[76:77], v[104:105]
	v_fma_f64 v[8:9], v[84:85], s[50:51], v[10:11]
	;; [unrolled: 1-line block ×4, first 2 shown]
	v_fma_f64 v[110:111], v[14:15], v[76:77], -v[80:81]
	v_fma_f64 v[14:15], v[90:91], s[46:47], v[18:19]
	v_add_f64_e32 v[8:9], v[2:3], v[8:9]
	s_delay_alu instid0(VALU_DEP_4) | instskip(SKIP_1) | instid1(VALU_DEP_3)
	v_add_f64_e32 v[4:5], v[12:13], v[4:5]
	v_fma_f64 v[12:13], v[96:97], s[8:9], v[24:25]
	v_add_f64_e32 v[8:9], v[10:11], v[8:9]
	v_fma_f64 v[10:11], v[94:95], s[40:41], v[22:23]
	s_delay_alu instid0(VALU_DEP_4) | instskip(SKIP_1) | instid1(VALU_DEP_4)
	v_add_f64_e32 v[4:5], v[6:7], v[4:5]
	v_fma_f64 v[6:7], v[102:103], s[34:35], v[28:29]
	v_add_f64_e32 v[8:9], v[14:15], v[8:9]
	v_fma_f64 v[14:15], v[100:101], s[36:37], v[26:27]
	s_delay_alu instid0(VALU_DEP_4) | instskip(NEXT) | instid1(VALU_DEP_3)
	v_add_f64_e32 v[4:5], v[12:13], v[4:5]
	v_add_f64_e32 v[8:9], v[10:11], v[8:9]
	v_fma_f64 v[10:11], v[106:107], s[6:7], v[98:99]
	s_delay_alu instid0(VALU_DEP_2) | instskip(NEXT) | instid1(VALU_DEP_2)
	v_add_f64_e32 v[8:9], v[14:15], v[8:9]
	v_add_f64_e32 v[4:5], v[10:11], v[4:5]
	s_delay_alu instid0(VALU_DEP_2) | instskip(NEXT) | instid1(VALU_DEP_2)
	v_add_f64_e32 v[6:7], v[6:7], v[8:9]
	v_mul_f64_e32 v[10:11], v[4:5], v[74:75]
	s_delay_alu instid0(VALU_DEP_2) | instskip(NEXT) | instid1(VALU_DEP_2)
	v_mul_f64_e32 v[8:9], v[6:7], v[74:75]
	v_fma_f64 v[76:77], v[6:7], v[66:67], -v[10:11]
	scratch_load_b64 v[6:7], off, off offset:16 th:TH_LOAD_LU ; 8-byte Folded Reload
	v_fma_f64 v[74:75], v[4:5], v[66:67], v[8:9]
	s_clause 0x1
	scratch_load_b64 v[8:9], off, off offset:8 th:TH_LOAD_LU
	scratch_load_b64 v[4:5], off, off offset:32 th:TH_LOAD_LU
	s_wait_loadcnt 0x0
	v_add_f64_e32 v[2:3], v[2:3], v[4:5]
	scratch_load_b64 v[4:5], off, off offset:24 th:TH_LOAD_LU ; 8-byte Folded Reload
	s_wait_loadcnt 0x0
	v_add_f64_e32 v[0:1], v[0:1], v[4:5]
	scratch_load_b64 v[4:5], off, off offset:48 th:TH_LOAD_LU ; 8-byte Folded Reload
	;; [unrolled: 3-line block ×10, first 2 shown]
	global_wb scope:SCOPE_SE
	s_wait_loadcnt 0x0
	s_wait_storecnt 0x0
	s_barrier_signal -1
	s_barrier_wait -1
	global_inv scope:SCOPE_SE
	v_add_f64_e32 v[0:1], v[0:1], v[30:31]
	s_delay_alu instid0(VALU_DEP_1) | instskip(NEXT) | instid1(VALU_DEP_1)
	v_add_f64_e32 v[0:1], v[0:1], v[44:45]
	v_add_f64_e32 v[0:1], v[0:1], v[48:49]
	s_delay_alu instid0(VALU_DEP_1) | instskip(NEXT) | instid1(VALU_DEP_1)
	v_add_f64_e32 v[0:1], v[0:1], v[52:53]
	;; [unrolled: 3-line block ×3, first 2 shown]
	v_add_f64_e32 v[0:1], v[0:1], v[64:65]
	v_add_f64_e32 v[2:3], v[2:3], v[4:5]
	s_delay_alu instid0(VALU_DEP_1) | instskip(NEXT) | instid1(VALU_DEP_1)
	v_add_f64_e32 v[2:3], v[2:3], v[46:47]
	v_add_f64_e32 v[2:3], v[2:3], v[50:51]
	s_delay_alu instid0(VALU_DEP_1) | instskip(NEXT) | instid1(VALU_DEP_1)
	;; [unrolled: 3-line block ×3, first 2 shown]
	v_add_f64_e32 v[2:3], v[2:3], v[62:63]
	v_add_f64_e32 v[2:3], v[2:3], v[68:69]
	s_delay_alu instid0(VALU_DEP_1) | instskip(SKIP_1) | instid1(VALU_DEP_2)
	v_mul_f64_e32 v[4:5], v[2:3], v[6:7]
	v_mul_f64_e32 v[6:7], v[0:1], v[6:7]
	v_fma_f64 v[0:1], v[0:1], v[8:9], v[4:5]
	s_delay_alu instid0(VALU_DEP_2)
	v_fma_f64 v[2:3], v[2:3], v[8:9], -v[6:7]
	ds_store_b128 v180, v[32:35] offset:416
	ds_store_b128 v180, v[40:43] offset:624
	;; [unrolled: 1-line block ×12, first 2 shown]
	ds_store_b128 v180, v[0:3]
	global_wb scope:SCOPE_SE
	s_wait_dscnt 0x0
	s_barrier_signal -1
	s_barrier_wait -1
	global_inv scope:SCOPE_SE
	s_and_saveexec_b32 s6, s33
	s_cbranch_execz .LBB0_18
; %bb.17:
	s_clause 0x3
	scratch_load_b32 v2, off, off th:TH_LOAD_LU
	scratch_load_b32 v1, off, off offset:4 th:TH_LOAD_LU
	scratch_load_b32 v23, off, off offset:144 th:TH_LOAD_LU
	;; [unrolled: 1-line block ×3, first 2 shown]
	v_mad_co_u64_u32 v[6:7], null, s12, v255, 0
	v_lshlrev_b32_e32 v0, 4, v255
	s_mul_u64 s[0:1], s[0:1], s[20:21]
	s_lshl_b64 s[4:5], s[4:5], 4
	s_wait_alu 0xfffe
	s_lshl_b64 s[0:1], s[0:1], 4
	v_add_nc_u32_e32 v15, 13, v255
	s_wait_alu 0xfffe
	s_add_nc_u64 s[0:1], s[2:3], s[0:1]
	s_wait_alu 0xfffe
	s_add_nc_u64 s[0:1], s[0:1], s[4:5]
	v_mad_co_u64_u32 v[8:9], null, s12, v15, 0
	s_wait_loadcnt 0x3
	v_mad_co_u64_u32 v[4:5], null, s14, v2, 0
	s_wait_loadcnt 0x2
	v_add3_u32 v31, 0, v1, v0
	s_delay_alu instid0(VALU_DEP_2) | instskip(NEXT) | instid1(VALU_DEP_1)
	v_dual_mov_b32 v1, v7 :: v_dual_mov_b32 v0, v5
	v_mad_co_u64_u32 v[2:3], null, s15, v2, v[0:1]
	s_delay_alu instid0(VALU_DEP_1) | instskip(SKIP_3) | instid1(VALU_DEP_3)
	v_dual_mov_b32 v5, v2 :: v_dual_add_nc_u32 v16, 26, v255
	v_mad_co_u64_u32 v[12:13], null, s13, v255, v[1:2]
	s_wait_loadcnt 0x0
	v_mad_co_u64_u32 v[13:14], null, s12, v18, 0
	v_mad_co_u64_u32 v[10:11], null, s12, v16, 0
	v_lshlrev_b64_e32 v[4:5], 4, v[4:5]
	ds_load_b128 v[0:3], v31
	v_dual_mov_b32 v7, v12 :: v_dual_mov_b32 v12, v14
	s_wait_alu 0xfffe
	v_add_co_u32 v32, vcc_lo, s0, v4
	s_delay_alu instid0(VALU_DEP_2)
	v_lshlrev_b64_e32 v[6:7], 4, v[6:7]
	s_wait_alu 0xfffd
	v_add_co_ci_u32_e32 v33, vcc_lo, s1, v5, vcc_lo
	v_mad_co_u64_u32 v[4:5], null, s13, v15, v[9:10]
	v_mad_co_u64_u32 v[16:17], null, s13, v16, v[11:12]
	;; [unrolled: 1-line block ×3, first 2 shown]
	v_add_co_u32 v14, vcc_lo, v32, v6
	s_wait_alu 0xfffd
	v_add_co_ci_u32_e32 v15, vcc_lo, v33, v7, vcc_lo
	v_mov_b32_e32 v9, v4
	ds_load_b128 v[4:7], v31 offset:208
	v_mov_b32_e32 v11, v16
	s_wait_dscnt 0x1
	global_store_b128 v[14:15], v[0:3], off
	v_mov_b32_e32 v14, v17
	v_lshlrev_b64_e32 v[0:1], 4, v[8:9]
	v_mad_co_u64_u32 v[15:16], null, s12, v23, 0
	s_delay_alu instid0(VALU_DEP_3) | instskip(NEXT) | instid1(VALU_DEP_3)
	v_lshlrev_b64_e32 v[12:13], 4, v[13:14]
	v_add_co_u32 v17, vcc_lo, v32, v0
	s_wait_alu 0xfffd
	s_delay_alu instid0(VALU_DEP_4) | instskip(NEXT) | instid1(VALU_DEP_4)
	v_add_co_ci_u32_e32 v18, vcc_lo, v33, v1, vcc_lo
	v_mov_b32_e32 v14, v16
	v_lshlrev_b64_e32 v[19:20], 4, v[10:11]
	ds_load_b128 v[0:3], v31 offset:416
	ds_load_b128 v[8:11], v31 offset:624
	s_clause 0x1
	scratch_load_b32 v27, off, off offset:140 th:TH_LOAD_LU
	scratch_load_b32 v26, off, off offset:136 th:TH_LOAD_LU
	v_mad_co_u64_u32 v[23:24], null, s13, v23, v[14:15]
	v_add_co_u32 v19, vcc_lo, v32, v19
	s_wait_alu 0xfffd
	v_add_co_ci_u32_e32 v20, vcc_lo, v33, v20, vcc_lo
	v_add_co_u32 v12, vcc_lo, v32, v12
	s_wait_alu 0xfffd
	v_add_co_ci_u32_e32 v13, vcc_lo, v33, v13, vcc_lo
	s_wait_dscnt 0x2
	global_store_b128 v[17:18], v[4:7], off
	s_wait_dscnt 0x1
	global_store_b128 v[19:20], v[0:3], off
	;; [unrolled: 2-line block ×3, first 2 shown]
	scratch_load_b32 v12, off, off offset:132 th:TH_LOAD_LU ; 4-byte Folded Reload
	s_wait_loadcnt 0x2
	v_mad_co_u64_u32 v[21:22], null, s12, v27, 0
	s_wait_loadcnt 0x1
	v_mad_co_u64_u32 v[24:25], null, s12, v26, 0
	s_delay_alu instid0(VALU_DEP_1) | instskip(NEXT) | instid1(VALU_DEP_1)
	v_mov_b32_e32 v2, v25
	v_mad_co_u64_u32 v[8:9], null, s13, v26, v[2:3]
	s_delay_alu instid0(VALU_DEP_1) | instskip(NEXT) | instid1(VALU_DEP_1)
	v_dual_mov_b32 v16, v23 :: v_dual_mov_b32 v25, v8
	v_lshlrev_b64_e32 v[0:1], 4, v[15:16]
	s_wait_loadcnt 0x0
	v_mad_co_u64_u32 v[16:17], null, s12, v12, 0
	v_mov_b32_e32 v14, v22
	s_delay_alu instid0(VALU_DEP_3) | instskip(SKIP_2) | instid1(VALU_DEP_4)
	v_add_co_u32 v18, vcc_lo, v32, v0
	s_wait_alu 0xfffd
	v_add_co_ci_u32_e32 v19, vcc_lo, v33, v1, vcc_lo
	v_mov_b32_e32 v9, v17
	ds_load_b128 v[0:3], v31 offset:832
	ds_load_b128 v[4:7], v31 offset:1040
	scratch_load_b32 v28, off, off offset:128 th:TH_LOAD_LU ; 4-byte Folded Reload
	v_mad_co_u64_u32 v[22:23], null, s13, v27, v[14:15]
	v_lshlrev_b64_e32 v[23:24], 4, v[24:25]
	s_delay_alu instid0(VALU_DEP_2) | instskip(NEXT) | instid1(VALU_DEP_1)
	v_lshlrev_b64_e32 v[10:11], 4, v[21:22]
	v_mad_co_u64_u32 v[20:21], null, s13, v12, v[9:10]
	v_add_co_u32 v26, vcc_lo, v32, v10
	s_wait_alu 0xfffd
	s_delay_alu instid0(VALU_DEP_3)
	v_add_co_ci_u32_e32 v27, vcc_lo, v33, v11, vcc_lo
	ds_load_b128 v[8:11], v31 offset:1248
	ds_load_b128 v[12:15], v31 offset:1456
	v_add_co_u32 v23, vcc_lo, v32, v23
	v_mov_b32_e32 v17, v20
	s_wait_alu 0xfffd
	v_add_co_ci_u32_e32 v24, vcc_lo, v33, v24, vcc_lo
	s_wait_dscnt 0x3
	global_store_b128 v[18:19], v[0:3], off
	v_lshlrev_b64_e32 v[16:17], 4, v[16:17]
	s_delay_alu instid0(VALU_DEP_1) | instskip(SKIP_1) | instid1(VALU_DEP_2)
	v_add_co_u32 v16, vcc_lo, v32, v16
	s_wait_alu 0xfffd
	v_add_co_ci_u32_e32 v17, vcc_lo, v33, v17, vcc_lo
	s_wait_loadcnt 0x0
	v_mad_co_u64_u32 v[21:22], null, s12, v28, 0
	s_delay_alu instid0(VALU_DEP_1) | instskip(NEXT) | instid1(VALU_DEP_1)
	v_mov_b32_e32 v20, v22
	v_mad_co_u64_u32 v[28:29], null, s13, v28, v[20:21]
	scratch_load_b32 v20, off, off offset:124 th:TH_LOAD_LU ; 4-byte Folded Reload
	s_wait_dscnt 0x2
	global_store_b128 v[26:27], v[4:7], off
	s_wait_dscnt 0x1
	global_store_b128 v[23:24], v[8:11], off
	;; [unrolled: 2-line block ×3, first 2 shown]
	s_clause 0x2
	scratch_load_b32 v5, off, off offset:120 th:TH_LOAD_LU
	scratch_load_b32 v14, off, off offset:116 th:TH_LOAD_LU
	;; [unrolled: 1-line block ×3, first 2 shown]
	v_mov_b32_e32 v22, v28
	s_delay_alu instid0(VALU_DEP_1) | instskip(NEXT) | instid1(VALU_DEP_1)
	v_lshlrev_b64_e32 v[1:2], 4, v[21:22]
	v_add_co_u32 v22, vcc_lo, v32, v1
	s_wait_alu 0xfffd
	s_delay_alu instid0(VALU_DEP_2)
	v_add_co_ci_u32_e32 v23, vcc_lo, v33, v2, vcc_lo
	s_wait_loadcnt 0x3
	v_mad_co_u64_u32 v[29:30], null, s12, v20, 0
	s_wait_loadcnt 0x2
	v_mad_co_u64_u32 v[8:9], null, s12, v5, 0
	;; [unrolled: 2-line block ×3, first 2 shown]
	s_delay_alu instid0(VALU_DEP_1) | instskip(NEXT) | instid1(VALU_DEP_1)
	v_dual_mov_b32 v0, v30 :: v_dual_mov_b32 v13, v25
	v_mad_co_u64_u32 v[3:4], null, s13, v20, v[0:1]
	v_mad_co_u64_u32 v[20:21], null, s12, v14, 0
	v_mov_b32_e32 v0, v9
	s_delay_alu instid0(VALU_DEP_3) | instskip(NEXT) | instid1(VALU_DEP_2)
	v_mov_b32_e32 v30, v3
	v_mad_co_u64_u32 v[9:10], null, s13, v5, v[0:1]
	s_delay_alu instid0(VALU_DEP_4) | instskip(SKIP_4) | instid1(VALU_DEP_2)
	v_mov_b32_e32 v10, v21
	ds_load_b128 v[0:3], v31 offset:1664
	ds_load_b128 v[4:7], v31 offset:1872
	v_lshlrev_b64_e32 v[11:12], 4, v[29:30]
	v_lshlrev_b64_e32 v[28:29], 4, v[8:9]
	v_mad_co_u64_u32 v[14:15], null, s13, v14, v[10:11]
	s_delay_alu instid0(VALU_DEP_1)
	v_mov_b32_e32 v21, v14
	v_mad_co_u64_u32 v[25:26], null, s13, v16, v[13:14]
	v_add_co_u32 v26, vcc_lo, v32, v11
	s_wait_alu 0xfffd
	v_add_co_ci_u32_e32 v27, vcc_lo, v33, v12, vcc_lo
	ds_load_b128 v[8:11], v31 offset:2080
	ds_load_b128 v[12:15], v31 offset:2288
	;; [unrolled: 1-line block ×3, first 2 shown]
	v_lshlrev_b64_e32 v[20:21], 4, v[20:21]
	v_add_co_u32 v28, vcc_lo, v32, v28
	v_lshlrev_b64_e32 v[24:25], 4, v[24:25]
	s_wait_alu 0xfffd
	v_add_co_ci_u32_e32 v29, vcc_lo, v33, v29, vcc_lo
	s_delay_alu instid0(VALU_DEP_4)
	v_add_co_u32 v20, vcc_lo, v32, v20
	s_wait_alu 0xfffd
	v_add_co_ci_u32_e32 v21, vcc_lo, v33, v21, vcc_lo
	v_add_co_u32 v24, vcc_lo, v32, v24
	s_wait_alu 0xfffd
	v_add_co_ci_u32_e32 v25, vcc_lo, v33, v25, vcc_lo
	s_wait_dscnt 0x4
	global_store_b128 v[22:23], v[0:3], off
	s_wait_dscnt 0x3
	global_store_b128 v[26:27], v[4:7], off
	;; [unrolled: 2-line block ×5, first 2 shown]
.LBB0_18:
	s_nop 0
	s_sendmsg sendmsg(MSG_DEALLOC_VGPRS)
	s_endpgm
	.section	.rodata,"a",@progbits
	.p2align	6, 0x0
	.amdhsa_kernel fft_rtc_back_len169_factors_13_13_wgs_156_tpt_13_dp_op_CI_CI_sbcc_twdbase5_3step
		.amdhsa_group_segment_fixed_size 0
		.amdhsa_private_segment_fixed_size 156
		.amdhsa_kernarg_size 112
		.amdhsa_user_sgpr_count 2
		.amdhsa_user_sgpr_dispatch_ptr 0
		.amdhsa_user_sgpr_queue_ptr 0
		.amdhsa_user_sgpr_kernarg_segment_ptr 1
		.amdhsa_user_sgpr_dispatch_id 0
		.amdhsa_user_sgpr_private_segment_size 0
		.amdhsa_wavefront_size32 1
		.amdhsa_uses_dynamic_stack 0
		.amdhsa_enable_private_segment 1
		.amdhsa_system_sgpr_workgroup_id_x 1
		.amdhsa_system_sgpr_workgroup_id_y 0
		.amdhsa_system_sgpr_workgroup_id_z 0
		.amdhsa_system_sgpr_workgroup_info 0
		.amdhsa_system_vgpr_workitem_id 0
		.amdhsa_next_free_vgpr 256
		.amdhsa_next_free_sgpr 59
		.amdhsa_reserve_vcc 1
		.amdhsa_float_round_mode_32 0
		.amdhsa_float_round_mode_16_64 0
		.amdhsa_float_denorm_mode_32 3
		.amdhsa_float_denorm_mode_16_64 3
		.amdhsa_fp16_overflow 0
		.amdhsa_workgroup_processor_mode 1
		.amdhsa_memory_ordered 1
		.amdhsa_forward_progress 0
		.amdhsa_round_robin_scheduling 0
		.amdhsa_exception_fp_ieee_invalid_op 0
		.amdhsa_exception_fp_denorm_src 0
		.amdhsa_exception_fp_ieee_div_zero 0
		.amdhsa_exception_fp_ieee_overflow 0
		.amdhsa_exception_fp_ieee_underflow 0
		.amdhsa_exception_fp_ieee_inexact 0
		.amdhsa_exception_int_div_zero 0
	.end_amdhsa_kernel
	.text
.Lfunc_end0:
	.size	fft_rtc_back_len169_factors_13_13_wgs_156_tpt_13_dp_op_CI_CI_sbcc_twdbase5_3step, .Lfunc_end0-fft_rtc_back_len169_factors_13_13_wgs_156_tpt_13_dp_op_CI_CI_sbcc_twdbase5_3step
                                        ; -- End function
	.section	.AMDGPU.csdata,"",@progbits
; Kernel info:
; codeLenInByte = 14112
; NumSgprs: 61
; NumVgprs: 256
; ScratchSize: 156
; MemoryBound: 0
; FloatMode: 240
; IeeeMode: 1
; LDSByteSize: 0 bytes/workgroup (compile time only)
; SGPRBlocks: 7
; VGPRBlocks: 31
; NumSGPRsForWavesPerEU: 61
; NumVGPRsForWavesPerEU: 256
; Occupancy: 5
; WaveLimiterHint : 1
; COMPUTE_PGM_RSRC2:SCRATCH_EN: 1
; COMPUTE_PGM_RSRC2:USER_SGPR: 2
; COMPUTE_PGM_RSRC2:TRAP_HANDLER: 0
; COMPUTE_PGM_RSRC2:TGID_X_EN: 1
; COMPUTE_PGM_RSRC2:TGID_Y_EN: 0
; COMPUTE_PGM_RSRC2:TGID_Z_EN: 0
; COMPUTE_PGM_RSRC2:TIDIG_COMP_CNT: 0
	.text
	.p2alignl 7, 3214868480
	.fill 96, 4, 3214868480
	.type	__hip_cuid_ee5c5f9d9771080d,@object ; @__hip_cuid_ee5c5f9d9771080d
	.section	.bss,"aw",@nobits
	.globl	__hip_cuid_ee5c5f9d9771080d
__hip_cuid_ee5c5f9d9771080d:
	.byte	0                               ; 0x0
	.size	__hip_cuid_ee5c5f9d9771080d, 1

	.ident	"AMD clang version 19.0.0git (https://github.com/RadeonOpenCompute/llvm-project roc-6.4.0 25133 c7fe45cf4b819c5991fe208aaa96edf142730f1d)"
	.section	".note.GNU-stack","",@progbits
	.addrsig
	.addrsig_sym __hip_cuid_ee5c5f9d9771080d
	.amdgpu_metadata
---
amdhsa.kernels:
  - .args:
      - .actual_access:  read_only
        .address_space:  global
        .offset:         0
        .size:           8
        .value_kind:     global_buffer
      - .address_space:  global
        .offset:         8
        .size:           8
        .value_kind:     global_buffer
      - .offset:         16
        .size:           8
        .value_kind:     by_value
      - .actual_access:  read_only
        .address_space:  global
        .offset:         24
        .size:           8
        .value_kind:     global_buffer
      - .actual_access:  read_only
        .address_space:  global
        .offset:         32
        .size:           8
        .value_kind:     global_buffer
      - .actual_access:  read_only
        .address_space:  global
        .offset:         40
        .size:           8
        .value_kind:     global_buffer
      - .offset:         48
        .size:           8
        .value_kind:     by_value
      - .actual_access:  read_only
        .address_space:  global
        .offset:         56
        .size:           8
        .value_kind:     global_buffer
      - .actual_access:  read_only
        .address_space:  global
        .offset:         64
        .size:           8
        .value_kind:     global_buffer
      - .offset:         72
        .size:           4
        .value_kind:     by_value
      - .actual_access:  read_only
        .address_space:  global
        .offset:         80
        .size:           8
        .value_kind:     global_buffer
      - .actual_access:  read_only
        .address_space:  global
        .offset:         88
        .size:           8
        .value_kind:     global_buffer
      - .actual_access:  read_only
        .address_space:  global
        .offset:         96
        .size:           8
        .value_kind:     global_buffer
      - .actual_access:  write_only
        .address_space:  global
        .offset:         104
        .size:           8
        .value_kind:     global_buffer
    .group_segment_fixed_size: 0
    .kernarg_segment_align: 8
    .kernarg_segment_size: 112
    .language:       OpenCL C
    .language_version:
      - 2
      - 0
    .max_flat_workgroup_size: 156
    .name:           fft_rtc_back_len169_factors_13_13_wgs_156_tpt_13_dp_op_CI_CI_sbcc_twdbase5_3step
    .private_segment_fixed_size: 156
    .sgpr_count:     61
    .sgpr_spill_count: 0
    .symbol:         fft_rtc_back_len169_factors_13_13_wgs_156_tpt_13_dp_op_CI_CI_sbcc_twdbase5_3step.kd
    .uniform_work_group_size: 1
    .uses_dynamic_stack: false
    .vgpr_count:     256
    .vgpr_spill_count: 38
    .wavefront_size: 32
    .workgroup_processor_mode: 1
amdhsa.target:   amdgcn-amd-amdhsa--gfx1201
amdhsa.version:
  - 1
  - 2
...

	.end_amdgpu_metadata
